;; amdgpu-corpus repo=pytorch/pytorch kind=compiled arch=gfx906 opt=O3
	.amdgcn_target "amdgcn-amd-amdhsa--gfx906"
	.amdhsa_code_object_version 6
	.text
	.p2align	2                               ; -- Begin function _ZN2at6native25elementwise_kernel_helperILb0EZZZNS0_12_GLOBAL__N_130modified_bessel_i0_kernel_cudaERNS_18TensorIteratorBaseEENKUlvE_clEvENKUlvE_clEvEUldE_NS0_6memory8policies11unroll_baseILi256ESt5arrayIPcLm2EE23TrivialOffsetCalculatorILi1EjESF_NS8_15LoadWithoutCastENS8_16StoreWithoutCastELi4ELi1EEEEEvT0_T1_
	.type	_ZN2at6native25elementwise_kernel_helperILb0EZZZNS0_12_GLOBAL__N_130modified_bessel_i0_kernel_cudaERNS_18TensorIteratorBaseEENKUlvE_clEvENKUlvE_clEvEUldE_NS0_6memory8policies11unroll_baseILi256ESt5arrayIPcLm2EE23TrivialOffsetCalculatorILi1EjESF_NS8_15LoadWithoutCastENS8_16StoreWithoutCastELi4ELi1EEEEEvT0_T1_,@function
_ZN2at6native25elementwise_kernel_helperILb0EZZZNS0_12_GLOBAL__N_130modified_bessel_i0_kernel_cudaERNS_18TensorIteratorBaseEENKUlvE_clEvENKUlvE_clEvEUldE_NS0_6memory8policies11unroll_baseILi256ESt5arrayIPcLm2EE23TrivialOffsetCalculatorILi1EjESF_NS8_15LoadWithoutCastENS8_16StoreWithoutCastELi4ELi1EEEEEvT0_T1_: ; @_ZN2at6native25elementwise_kernel_helperILb0EZZZNS0_12_GLOBAL__N_130modified_bessel_i0_kernel_cudaERNS_18TensorIteratorBaseEENKUlvE_clEvENKUlvE_clEvEUldE_NS0_6memory8policies11unroll_baseILi256ESt5arrayIPcLm2EE23TrivialOffsetCalculatorILi1EjESF_NS8_15LoadWithoutCastENS8_16StoreWithoutCastELi4ELi1EEEEEvT0_T1_
; %bb.0:
	s_waitcnt vmcnt(0) expcnt(0) lgkmcnt(0)
	v_and_b32_e32 v20, 0x3ff, v31
	s_lshl_b32 s10, s12, 10
	v_mov_b32_e32 v14, 0
	v_mov_b32_e32 v18, 0
	v_cmp_lt_i32_e64 s[4:5], v20, v4
	v_mov_b32_e32 v15, 0
	v_or_b32_e32 v5, s10, v20
	v_mov_b32_e32 v19, 0
	v_mov_b32_e32 v10, v20
	s_and_saveexec_b64 s[6:7], s[4:5]
	s_cbranch_execz .LBB0_2
; %bb.1:
	v_mov_b32_e32 v6, 0
	v_lshlrev_b64 v[6:7], 3, v[5:6]
	v_add_u32_e32 v10, 0x100, v20
	v_add_co_u32_e32 v6, vcc, v2, v6
	v_addc_co_u32_e32 v7, vcc, v3, v7, vcc
	flat_load_dwordx2 v[18:19], v[6:7]
	s_waitcnt vmcnt(0) lgkmcnt(0)
	v_and_b32_e32 v19, 0x7fffffff, v19
.LBB0_2:
	s_or_b64 exec, exec, s[6:7]
	v_cmp_lt_i32_e32 vcc, v10, v4
	s_and_saveexec_b64 s[6:7], vcc
	s_cbranch_execz .LBB0_4
; %bb.3:
	v_add_u32_e32 v6, s10, v10
	v_mov_b32_e32 v7, 0
	v_lshlrev_b64 v[6:7], 3, v[6:7]
	v_add_u32_e32 v10, 0x100, v10
	v_add_co_u32_e32 v6, vcc, v2, v6
	v_addc_co_u32_e32 v7, vcc, v3, v7, vcc
	flat_load_dwordx2 v[14:15], v[6:7]
	s_waitcnt vmcnt(0) lgkmcnt(0)
	v_and_b32_e32 v15, 0x7fffffff, v15
.LBB0_4:
	s_or_b64 exec, exec, s[6:7]
	v_mov_b32_e32 v6, 0
	v_mov_b32_e32 v8, 0
	;; [unrolled: 1-line block ×4, first 2 shown]
	v_cmp_lt_i32_e32 vcc, v10, v4
	s_and_saveexec_b64 s[6:7], vcc
	s_cbranch_execz .LBB0_6
; %bb.5:
	v_add_u32_e32 v8, s10, v10
	v_mov_b32_e32 v9, 0
	v_lshlrev_b64 v[8:9], 3, v[8:9]
	v_add_u32_e32 v10, 0x100, v10
	v_add_co_u32_e32 v8, vcc, v2, v8
	v_addc_co_u32_e32 v9, vcc, v3, v9, vcc
	flat_load_dwordx2 v[8:9], v[8:9]
	s_waitcnt vmcnt(0) lgkmcnt(0)
	v_and_b32_e32 v9, 0x7fffffff, v9
.LBB0_6:
	s_or_b64 exec, exec, s[6:7]
	v_cmp_lt_i32_e32 vcc, v10, v4
	s_and_saveexec_b64 s[6:7], vcc
	s_cbranch_execz .LBB0_8
; %bb.7:
	v_add_u32_e32 v6, s10, v10
	v_mov_b32_e32 v7, 0
	v_lshlrev_b64 v[6:7], 3, v[6:7]
	v_add_co_u32_e32 v2, vcc, v2, v6
	v_addc_co_u32_e32 v3, vcc, v3, v7, vcc
	flat_load_dwordx2 v[6:7], v[2:3]
	s_waitcnt vmcnt(0) lgkmcnt(0)
	v_and_b32_e32 v7, 0x7fffffff, v7
.LBB0_8:
	s_or_b64 exec, exec, s[6:7]
	v_mov_b32_e32 v2, 0
	v_mov_b32_e32 v3, v2
	;; [unrolled: 1-line block ×8, first 2 shown]
	s_and_saveexec_b64 s[6:7], s[4:5]
	s_cbranch_execz .LBB0_14
; %bb.9:
	s_mov_b32 s8, 0
	s_mov_b32 s9, 0x40200000
	v_cmp_ge_f64_e32 vcc, s[8:9], v[18:19]
                                        ; implicit-def: $vgpr2_vgpr3
	s_and_saveexec_b64 s[8:9], vcc
	s_xor_b64 s[8:9], exec, s[8:9]
	s_cbranch_execz .LBB0_11
; %bb.10:
	v_fma_f64 v[2:3], v[18:19], 0.5, -2.0
	v_mov_b32_e32 v10, 0x977da589
	v_mov_b32_e32 v11, 0x3c833362
	s_mov_b32 s13, 0xbc545cb7
	s_mov_b32 s12, 0x2134d0ef
	v_fma_f64 v[10:11], v[2:3], s[12:13], v[10:11]
	s_mov_b32 s13, 0x3c545cb7
	v_fma_f64 v[12:13], v[2:3], v[10:11], s[12:13]
	s_mov_b32 s12, 0x721ebbb4
	s_mov_b32 s13, 0xbcb184eb
	v_add_f64 v[12:13], v[12:13], s[12:13]
	s_mov_b32 s12, 0x93f65eba
	s_mov_b32 s13, 0x3cdee6d8
	v_fma_f64 v[10:11], v[2:3], v[12:13], -v[10:11]
	v_add_f64 v[10:11], v[10:11], s[12:13]
	s_mov_b32 s12, 0xc297fbeb
	s_mov_b32 s13, 0xbd0a5022
	v_fma_f64 v[12:13], v[2:3], v[10:11], -v[12:13]
	;; [unrolled: 4-line block ×27, first 2 shown]
	v_add_f64 v[2:3], v[2:3], s[12:13]
	s_mov_b32 s12, 0x652b82fe
	s_mov_b32 s13, 0x3ff71547
	v_mul_f64 v[12:13], v[18:19], s[12:13]
	s_mov_b32 s12, 0xfefa39ef
	s_mov_b32 s13, 0xbfe62e42
	v_add_f64 v[2:3], v[2:3], -v[10:11]
	v_rndne_f64_e32 v[12:13], v[12:13]
	v_mul_f64 v[2:3], v[2:3], 0.5
	v_fma_f64 v[16:17], v[12:13], s[12:13], v[18:19]
	s_mov_b32 s12, 0x3b39803f
	s_mov_b32 s13, 0xbc7abc9e
	v_mov_b32_e32 v18, 0xfca7ab0c
	v_mov_b32_e32 v19, 0x3e928af3
	v_fma_f64 v[16:17], v[12:13], s[12:13], v[16:17]
	s_mov_b32 s12, 0x6a5dcb37
	s_mov_b32 s13, 0x3e5ade15
	v_cvt_i32_f64_e32 v12, v[12:13]
	v_fma_f64 v[18:19], v[16:17], s[12:13], v[18:19]
	s_mov_b32 s12, 0x623fde64
	s_mov_b32 s13, 0x3ec71dee
	v_fma_f64 v[18:19], v[16:17], v[18:19], s[12:13]
	s_mov_b32 s12, 0x7c89e6b0
	s_mov_b32 s13, 0x3efa0199
	;; [unrolled: 3-line block ×8, first 2 shown]
	v_fma_f64 v[18:19], v[16:17], v[18:19], s[12:13]
	v_fma_f64 v[18:19], v[16:17], v[18:19], 1.0
	v_fma_f64 v[16:17], v[16:17], v[18:19], 1.0
                                        ; implicit-def: $vgpr18_vgpr19
	v_ldexp_f64 v[12:13], v[16:17], v12
	v_mul_f64 v[2:3], v[12:13], v[2:3]
.LBB0_11:
	s_andn2_saveexec_b64 s[8:9], s[8:9]
	s_cbranch_execz .LBB0_13
; %bb.12:
	s_mov_b32 s12, 0
	s_mov_b32 s13, 0x40400000
	v_div_scale_f64 v[2:3], s[14:15], v[18:19], v[18:19], s[12:13]
	v_mov_b32_e32 v21, 0xfca7ab0c
	v_mov_b32_e32 v22, 0x3e928af3
	v_rcp_f64_e32 v[10:11], v[2:3]
	v_fma_f64 v[12:13], -v[2:3], v[10:11], 1.0
	v_fma_f64 v[10:11], v[10:11], v[12:13], v[10:11]
	v_fma_f64 v[12:13], -v[2:3], v[10:11], 1.0
	v_fma_f64 v[10:11], v[10:11], v[12:13], v[10:11]
	v_div_scale_f64 v[12:13], vcc, s[12:13], v[18:19], s[12:13]
	v_mul_f64 v[16:17], v[12:13], v[10:11]
	v_fma_f64 v[2:3], -v[2:3], v[16:17], v[12:13]
	s_nop 1
	v_div_fmas_f64 v[2:3], v[2:3], v[10:11], v[16:17]
	v_mov_b32_e32 v10, 0x66119130
	v_mov_b32_e32 v11, 0xbc5646da
	v_div_fixup_f64 v[2:3], v[2:3], v[18:19], s[12:13]
	s_mov_b32 s13, 0xbc60adb7
	s_mov_b32 s12, 0x54ca8b19
	v_add_f64 v[2:3], v[2:3], -2.0
	v_fma_f64 v[10:11], v[2:3], s[12:13], v[10:11]
	s_mov_b32 s13, 0x3c60adb7
	v_fma_f64 v[12:13], v[2:3], v[10:11], s[12:13]
	s_mov_b32 s12, 0x12d98421
	s_mov_b32 s13, 0x3c89be18
	v_add_f64 v[12:13], v[12:13], s[12:13]
	s_mov_b32 s12, 0x76041cd
	s_mov_b32 s13, 0x3c83f3dd
	v_fma_f64 v[10:11], v[2:3], v[12:13], -v[10:11]
	v_add_f64 v[10:11], v[10:11], s[12:13]
	s_mov_b32 s12, 0xabd21fe4
	s_mov_b32 s13, 0xbcb4600b
	v_fma_f64 v[12:13], v[2:3], v[10:11], -v[12:13]
	;; [unrolled: 4-line block ×22, first 2 shown]
	v_add_f64 v[2:3], v[2:3], s[12:13]
	s_mov_b32 s12, 0x652b82fe
	s_mov_b32 s13, 0x3ff71547
	v_mul_f64 v[10:11], v[18:19], s[12:13]
	s_mov_b32 s12, 0xfefa39ef
	s_mov_b32 s13, 0xbfe62e42
	v_add_f64 v[2:3], v[2:3], -v[12:13]
	v_rndne_f64_e32 v[10:11], v[10:11]
	v_mul_f64 v[2:3], v[2:3], 0.5
	v_fma_f64 v[16:17], v[10:11], s[12:13], v[18:19]
	s_mov_b32 s12, 0x3b39803f
	s_mov_b32 s13, 0xbc7abc9e
	v_fma_f64 v[16:17], v[10:11], s[12:13], v[16:17]
	s_mov_b32 s12, 0x6a5dcb37
	s_mov_b32 s13, 0x3e5ade15
	v_cvt_i32_f64_e32 v10, v[10:11]
	v_fma_f64 v[21:22], v[16:17], s[12:13], v[21:22]
	s_mov_b32 s12, 0x623fde64
	s_mov_b32 s13, 0x3ec71dee
	v_fma_f64 v[21:22], v[16:17], v[21:22], s[12:13]
	s_mov_b32 s12, 0x7c89e6b0
	s_mov_b32 s13, 0x3efa0199
	v_fma_f64 v[21:22], v[16:17], v[21:22], s[12:13]
	s_mov_b32 s12, 0x14761f6e
	s_mov_b32 s13, 0x3f2a01a0
	v_fma_f64 v[21:22], v[16:17], v[21:22], s[12:13]
	s_mov_b32 s12, 0x1852b7b0
	s_mov_b32 s13, 0x3f56c16c
	v_fma_f64 v[21:22], v[16:17], v[21:22], s[12:13]
	s_mov_b32 s12, 0x11122322
	s_mov_b32 s13, 0x3f811111
	v_fma_f64 v[21:22], v[16:17], v[21:22], s[12:13]
	s_mov_b32 s12, 0x555502a1
	s_mov_b32 s13, 0x3fa55555
	v_fma_f64 v[21:22], v[16:17], v[21:22], s[12:13]
	s_mov_b32 s12, 0x55555511
	s_mov_b32 s13, 0x3fc55555
	v_fma_f64 v[21:22], v[16:17], v[21:22], s[12:13]
	s_mov_b32 s12, 11
	s_mov_b32 s13, 0x3fe00000
	v_fma_f64 v[21:22], v[16:17], v[21:22], s[12:13]
	s_mov_b32 s12, 0
	s_mov_b32 s13, 0x40900000
	v_cmp_nlt_f64_e32 vcc, s[12:13], v[18:19]
	s_mov_b32 s12, 0
	s_brev_b32 s13, 8
	v_fma_f64 v[21:22], v[16:17], v[21:22], 1.0
	v_fma_f64 v[16:17], v[16:17], v[21:22], 1.0
	v_ldexp_f64 v[10:11], v[16:17], v10
	v_mov_b32_e32 v16, 0x7ff00000
	v_cndmask_b32_e32 v11, v16, v11, vcc
	v_cndmask_b32_e32 v10, 0, v10, vcc
	v_cmp_gt_f64_e32 vcc, s[12:13], v[18:19]
	v_mul_f64 v[2:3], v[10:11], v[2:3]
	v_mov_b32_e32 v10, 0x100
	v_cndmask_b32_e32 v10, 0, v10, vcc
	v_ldexp_f64 v[10:11], v[18:19], v10
	v_rsq_f64_e32 v[12:13], v[10:11]
	v_mul_f64 v[16:17], v[10:11], v[12:13]
	v_mul_f64 v[12:13], v[12:13], 0.5
	v_fma_f64 v[18:19], -v[12:13], v[16:17], 0.5
	v_fma_f64 v[16:17], v[16:17], v[18:19], v[16:17]
	v_fma_f64 v[12:13], v[12:13], v[18:19], v[12:13]
	v_fma_f64 v[21:22], -v[16:17], v[16:17], v[10:11]
	v_fma_f64 v[16:17], v[21:22], v[12:13], v[16:17]
	v_fma_f64 v[18:19], -v[16:17], v[16:17], v[10:11]
	v_fma_f64 v[12:13], v[18:19], v[12:13], v[16:17]
	v_mov_b32_e32 v16, 0xffffff80
	v_cndmask_b32_e32 v16, 0, v16, vcc
	v_ldexp_f64 v[12:13], v[12:13], v16
	v_mov_b32_e32 v16, 0x260
	v_cmp_class_f64_e32 vcc, v[10:11], v16
	v_cndmask_b32_e32 v11, v13, v11, vcc
	v_cndmask_b32_e32 v10, v12, v10, vcc
	v_div_scale_f64 v[12:13], s[12:13], v[10:11], v[10:11], v[2:3]
	v_rcp_f64_e32 v[16:17], v[12:13]
	v_fma_f64 v[18:19], -v[12:13], v[16:17], 1.0
	v_fma_f64 v[16:17], v[16:17], v[18:19], v[16:17]
	v_fma_f64 v[18:19], -v[12:13], v[16:17], 1.0
	v_fma_f64 v[16:17], v[16:17], v[18:19], v[16:17]
	v_div_scale_f64 v[18:19], vcc, v[2:3], v[10:11], v[2:3]
	v_mul_f64 v[21:22], v[18:19], v[16:17]
	v_fma_f64 v[12:13], -v[12:13], v[21:22], v[18:19]
	s_nop 1
	v_div_fmas_f64 v[12:13], v[12:13], v[16:17], v[21:22]
	v_div_fixup_f64 v[2:3], v[12:13], v[10:11], v[2:3]
.LBB0_13:
	s_or_b64 exec, exec, s[8:9]
	v_mov_b32_e32 v16, 0
	v_mov_b32_e32 v17, v16
	;; [unrolled: 1-line block ×6, first 2 shown]
.LBB0_14:
	s_or_b64 exec, exec, s[6:7]
	v_add_u32_e32 v18, 0x100, v20
	v_cmp_lt_i32_e32 vcc, v18, v4
	s_and_saveexec_b64 s[6:7], vcc
	s_cbranch_execz .LBB0_20
; %bb.15:
	s_mov_b32 s8, 0
	s_mov_b32 s9, 0x40200000
	v_cmp_ge_f64_e32 vcc, s[8:9], v[14:15]
	s_and_saveexec_b64 s[8:9], vcc
	s_xor_b64 s[8:9], exec, s[8:9]
                                        ; implicit-def: $vgpr16_vgpr17
	s_cbranch_execz .LBB0_17
; %bb.16:
	v_fma_f64 v[16:17], v[14:15], 0.5, -2.0
	v_mov_b32_e32 v21, 0x977da589
	v_mov_b32_e32 v22, 0x3c833362
	s_mov_b32 s13, 0xbc545cb7
	s_mov_b32 s12, 0x2134d0ef
	v_mov_b32_e32 v25, 0xfca7ab0c
	v_mov_b32_e32 v26, 0x3e928af3
	v_fma_f64 v[21:22], v[16:17], s[12:13], v[21:22]
	s_mov_b32 s13, 0x3c545cb7
	v_fma_f64 v[23:24], v[16:17], v[21:22], s[12:13]
	s_mov_b32 s12, 0x721ebbb4
	s_mov_b32 s13, 0xbcb184eb
	v_add_f64 v[23:24], v[23:24], s[12:13]
	s_mov_b32 s12, 0x93f65eba
	s_mov_b32 s13, 0x3cdee6d8
	v_fma_f64 v[21:22], v[16:17], v[23:24], -v[21:22]
	v_add_f64 v[21:22], v[21:22], s[12:13]
	s_mov_b32 s12, 0xc297fbeb
	s_mov_b32 s13, 0xbd0a5022
	v_fma_f64 v[23:24], v[16:17], v[21:22], -v[23:24]
	;; [unrolled: 4-line block ×27, first 2 shown]
	v_add_f64 v[16:17], v[16:17], s[12:13]
	s_mov_b32 s12, 0x652b82fe
	s_mov_b32 s13, 0x3ff71547
	v_mul_f64 v[23:24], v[14:15], s[12:13]
	s_mov_b32 s12, 0xfefa39ef
	s_mov_b32 s13, 0xbfe62e42
	v_add_f64 v[16:17], v[16:17], -v[21:22]
	v_rndne_f64_e32 v[23:24], v[23:24]
	v_mul_f64 v[16:17], v[16:17], 0.5
	v_fma_f64 v[14:15], v[23:24], s[12:13], v[14:15]
	s_mov_b32 s12, 0x3b39803f
	s_mov_b32 s13, 0xbc7abc9e
	v_cvt_i32_f64_e32 v19, v[23:24]
	v_fma_f64 v[14:15], v[23:24], s[12:13], v[14:15]
	s_mov_b32 s12, 0x6a5dcb37
	s_mov_b32 s13, 0x3e5ade15
	v_fma_f64 v[25:26], v[14:15], s[12:13], v[25:26]
	s_mov_b32 s12, 0x623fde64
	s_mov_b32 s13, 0x3ec71dee
	;; [unrolled: 3-line block ×9, first 2 shown]
	v_fma_f64 v[25:26], v[14:15], v[25:26], s[12:13]
	v_fma_f64 v[25:26], v[14:15], v[25:26], 1.0
	v_fma_f64 v[14:15], v[14:15], v[25:26], 1.0
	v_ldexp_f64 v[14:15], v[14:15], v19
	v_mul_f64 v[16:17], v[14:15], v[16:17]
                                        ; implicit-def: $vgpr14_vgpr15
.LBB0_17:
	s_andn2_saveexec_b64 s[8:9], s[8:9]
	s_cbranch_execz .LBB0_19
; %bb.18:
	s_mov_b32 s12, 0
	s_mov_b32 s13, 0x40400000
	v_div_scale_f64 v[16:17], s[14:15], v[14:15], v[14:15], s[12:13]
	v_mov_b32_e32 v27, 0xfca7ab0c
	v_mov_b32_e32 v28, 0x3e928af3
	v_rcp_f64_e32 v[21:22], v[16:17]
	v_fma_f64 v[23:24], -v[16:17], v[21:22], 1.0
	v_fma_f64 v[21:22], v[21:22], v[23:24], v[21:22]
	v_fma_f64 v[23:24], -v[16:17], v[21:22], 1.0
	v_fma_f64 v[21:22], v[21:22], v[23:24], v[21:22]
	v_div_scale_f64 v[23:24], vcc, s[12:13], v[14:15], s[12:13]
	v_mul_f64 v[25:26], v[23:24], v[21:22]
	v_fma_f64 v[16:17], -v[16:17], v[25:26], v[23:24]
	s_nop 1
	v_div_fmas_f64 v[16:17], v[16:17], v[21:22], v[25:26]
	v_mov_b32_e32 v21, 0x66119130
	v_mov_b32_e32 v22, 0xbc5646da
	v_div_fixup_f64 v[16:17], v[16:17], v[14:15], s[12:13]
	s_mov_b32 s13, 0xbc60adb7
	s_mov_b32 s12, 0x54ca8b19
	v_add_f64 v[16:17], v[16:17], -2.0
	v_fma_f64 v[21:22], v[16:17], s[12:13], v[21:22]
	s_mov_b32 s13, 0x3c60adb7
	v_fma_f64 v[23:24], v[16:17], v[21:22], s[12:13]
	s_mov_b32 s12, 0x12d98421
	s_mov_b32 s13, 0x3c89be18
	v_add_f64 v[23:24], v[23:24], s[12:13]
	s_mov_b32 s12, 0x76041cd
	s_mov_b32 s13, 0x3c83f3dd
	v_fma_f64 v[21:22], v[16:17], v[23:24], -v[21:22]
	v_add_f64 v[21:22], v[21:22], s[12:13]
	s_mov_b32 s12, 0xabd21fe4
	s_mov_b32 s13, 0xbcb4600b
	v_fma_f64 v[23:24], v[16:17], v[21:22], -v[23:24]
	;; [unrolled: 4-line block ×22, first 2 shown]
	v_add_f64 v[16:17], v[16:17], s[12:13]
	s_mov_b32 s12, 0x652b82fe
	s_mov_b32 s13, 0x3ff71547
	v_mul_f64 v[21:22], v[14:15], s[12:13]
	s_mov_b32 s12, 0xfefa39ef
	s_mov_b32 s13, 0xbfe62e42
	v_add_f64 v[16:17], v[16:17], -v[23:24]
	v_rndne_f64_e32 v[21:22], v[21:22]
	v_mul_f64 v[16:17], v[16:17], 0.5
	v_fma_f64 v[25:26], v[21:22], s[12:13], v[14:15]
	s_mov_b32 s12, 0x3b39803f
	s_mov_b32 s13, 0xbc7abc9e
	v_cvt_i32_f64_e32 v19, v[21:22]
	v_fma_f64 v[25:26], v[21:22], s[12:13], v[25:26]
	s_mov_b32 s12, 0x6a5dcb37
	s_mov_b32 s13, 0x3e5ade15
	v_fma_f64 v[27:28], v[25:26], s[12:13], v[27:28]
	s_mov_b32 s12, 0x623fde64
	s_mov_b32 s13, 0x3ec71dee
	;; [unrolled: 3-line block ×10, first 2 shown]
	v_cmp_nlt_f64_e32 vcc, s[12:13], v[14:15]
	s_mov_b32 s12, 0
	s_brev_b32 s13, 8
	v_fma_f64 v[27:28], v[25:26], v[27:28], 1.0
	v_fma_f64 v[25:26], v[25:26], v[27:28], 1.0
	v_ldexp_f64 v[21:22], v[25:26], v19
	v_mov_b32_e32 v19, 0x7ff00000
	v_cndmask_b32_e32 v22, v19, v22, vcc
	v_cndmask_b32_e32 v21, 0, v21, vcc
	v_cmp_gt_f64_e32 vcc, s[12:13], v[14:15]
	v_mov_b32_e32 v19, 0x100
	v_mul_f64 v[16:17], v[21:22], v[16:17]
	v_cndmask_b32_e32 v19, 0, v19, vcc
	v_ldexp_f64 v[14:15], v[14:15], v19
	v_mov_b32_e32 v19, 0xffffff80
	v_cndmask_b32_e32 v19, 0, v19, vcc
	v_rsq_f64_e32 v[21:22], v[14:15]
	v_mul_f64 v[23:24], v[14:15], v[21:22]
	v_mul_f64 v[21:22], v[21:22], 0.5
	v_fma_f64 v[25:26], -v[21:22], v[23:24], 0.5
	v_fma_f64 v[23:24], v[23:24], v[25:26], v[23:24]
	v_fma_f64 v[21:22], v[21:22], v[25:26], v[21:22]
	v_fma_f64 v[27:28], -v[23:24], v[23:24], v[14:15]
	v_fma_f64 v[23:24], v[27:28], v[21:22], v[23:24]
	v_fma_f64 v[25:26], -v[23:24], v[23:24], v[14:15]
	v_fma_f64 v[21:22], v[25:26], v[21:22], v[23:24]
	v_ldexp_f64 v[21:22], v[21:22], v19
	v_mov_b32_e32 v19, 0x260
	v_cmp_class_f64_e32 vcc, v[14:15], v19
	v_cndmask_b32_e32 v15, v22, v15, vcc
	v_cndmask_b32_e32 v14, v21, v14, vcc
	v_div_scale_f64 v[21:22], s[12:13], v[14:15], v[14:15], v[16:17]
	v_rcp_f64_e32 v[23:24], v[21:22]
	v_fma_f64 v[25:26], -v[21:22], v[23:24], 1.0
	v_fma_f64 v[23:24], v[23:24], v[25:26], v[23:24]
	v_fma_f64 v[25:26], -v[21:22], v[23:24], 1.0
	v_fma_f64 v[23:24], v[23:24], v[25:26], v[23:24]
	v_div_scale_f64 v[25:26], vcc, v[16:17], v[14:15], v[16:17]
	v_mul_f64 v[27:28], v[25:26], v[23:24]
	v_fma_f64 v[21:22], -v[21:22], v[27:28], v[25:26]
	s_nop 1
	v_div_fmas_f64 v[21:22], v[21:22], v[23:24], v[27:28]
	v_div_fixup_f64 v[16:17], v[21:22], v[14:15], v[16:17]
.LBB0_19:
	s_or_b64 exec, exec, s[8:9]
.LBB0_20:
	s_or_b64 exec, exec, s[6:7]
	v_add_u32_e32 v14, 0x200, v20
	v_cmp_lt_i32_e32 vcc, v14, v4
	s_and_saveexec_b64 s[6:7], vcc
	s_cbranch_execz .LBB0_26
; %bb.21:
	s_mov_b32 s8, 0
	s_mov_b32 s9, 0x40200000
	v_cmp_ge_f64_e32 vcc, s[8:9], v[8:9]
	s_and_saveexec_b64 s[8:9], vcc
	s_xor_b64 s[8:9], exec, s[8:9]
                                        ; implicit-def: $vgpr12_vgpr13
	s_cbranch_execz .LBB0_23
; %bb.22:
	v_fma_f64 v[12:13], v[8:9], 0.5, -2.0
	v_mov_b32_e32 v14, 0x977da589
	v_mov_b32_e32 v15, 0x3c833362
	s_mov_b32 s13, 0xbc545cb7
	s_mov_b32 s12, 0x2134d0ef
	;; [unrolled: 1-line block ×4, first 2 shown]
	v_mov_b32_e32 v25, 0xfca7ab0c
	v_fma_f64 v[14:15], v[12:13], s[12:13], v[14:15]
	s_mov_b32 s13, 0x3c545cb7
	v_mov_b32_e32 v26, 0x3e928af3
	v_fma_f64 v[21:22], v[12:13], v[14:15], s[12:13]
	s_mov_b32 s12, 0x721ebbb4
	s_mov_b32 s13, 0xbcb184eb
	v_add_f64 v[21:22], v[21:22], s[12:13]
	s_mov_b32 s12, 0x93f65eba
	s_mov_b32 s13, 0x3cdee6d8
	v_fma_f64 v[14:15], v[12:13], v[21:22], -v[14:15]
	v_add_f64 v[14:15], v[14:15], s[12:13]
	s_mov_b32 s12, 0xc297fbeb
	s_mov_b32 s13, 0xbd0a5022
	v_fma_f64 v[21:22], v[12:13], v[14:15], -v[21:22]
	;; [unrolled: 4-line block ×20, first 2 shown]
	v_add_f64 v[21:22], v[21:22], s[12:13]
	s_mov_b32 s12, 0x652b82fe
	s_mov_b32 s13, 0x3ff71547
	v_mul_f64 v[23:24], v[8:9], s[12:13]
	s_mov_b32 s12, 0xf3dde3dd
	s_mov_b32 s13, 0x3f859961
	v_fma_f64 v[14:15], v[12:13], v[21:22], -v[14:15]
	v_rndne_f64_e32 v[23:24], v[23:24]
	v_add_f64 v[14:15], v[14:15], s[12:13]
	s_mov_b32 s12, 0xfefa39ef
	s_mov_b32 s13, 0xbfe62e42
	v_fma_f64 v[8:9], v[23:24], s[12:13], v[8:9]
	s_mov_b32 s12, 0xf121b6f0
	s_mov_b32 s13, 0xbf984e9e
	v_fma_f64 v[21:22], v[12:13], v[14:15], -v[21:22]
	v_fma_f64 v[8:9], v[23:24], s[14:15], v[8:9]
	s_mov_b32 s14, 0x623fde64
	s_mov_b32 s15, 0x3ec71dee
	v_add_f64 v[21:22], v[21:22], s[12:13]
	s_mov_b32 s12, 0x6a5dcb37
	s_mov_b32 s13, 0x3e5ade15
	v_fma_f64 v[25:26], v[8:9], s[12:13], v[25:26]
	s_mov_b32 s12, 0xcea8a32d
	s_mov_b32 s13, 0x3fa93e8a
	v_fma_f64 v[14:15], v[12:13], v[21:22], -v[14:15]
	v_fma_f64 v[25:26], v[8:9], v[25:26], s[14:15]
	s_mov_b32 s14, 0x14761f6e
	s_mov_b32 s15, 0x3f2a01a0
	;; [unrolled: 10-line block ×4, first 2 shown]
	v_add_f64 v[14:15], v[14:15], s[12:13]
	s_mov_b32 s12, 0x555502a1
	s_mov_b32 s13, 0x3fa55555
	v_fma_f64 v[25:26], v[8:9], v[25:26], s[12:13]
	s_mov_b32 s12, 0xc057cd8d
	s_mov_b32 s13, 0xbfd37feb
	v_fma_f64 v[21:22], v[12:13], v[14:15], -v[21:22]
	v_fma_f64 v[25:26], v[8:9], v[25:26], s[14:15]
	v_add_f64 v[21:22], v[21:22], s[12:13]
	s_mov_b32 s12, 11
	s_mov_b32 s13, 0x3fe00000
	v_fma_f64 v[25:26], v[8:9], v[25:26], s[12:13]
	s_mov_b32 s12, 0x9035a22a
	s_mov_b32 s13, 0x3fe5a84e
	v_fma_f64 v[12:13], v[12:13], v[21:22], -v[14:15]
	v_fma_f64 v[21:22], v[8:9], v[25:26], 1.0
	v_add_f64 v[12:13], v[12:13], s[12:13]
	v_fma_f64 v[8:9], v[8:9], v[21:22], 1.0
	v_add_f64 v[12:13], v[12:13], -v[14:15]
	v_cvt_i32_f64_e32 v14, v[23:24]
	v_ldexp_f64 v[8:9], v[8:9], v14
	v_mul_f64 v[12:13], v[12:13], 0.5
	v_mul_f64 v[12:13], v[8:9], v[12:13]
                                        ; implicit-def: $vgpr8_vgpr9
.LBB0_23:
	s_andn2_saveexec_b64 s[8:9], s[8:9]
	s_cbranch_execz .LBB0_25
; %bb.24:
	s_mov_b32 s12, 0
	s_mov_b32 s13, 0x40400000
	v_div_scale_f64 v[12:13], s[14:15], v[8:9], v[8:9], s[12:13]
	v_mov_b32_e32 v25, 0xfca7ab0c
	v_mov_b32_e32 v26, 0x3e928af3
	;; [unrolled: 1-line block ×3, first 2 shown]
	v_rcp_f64_e32 v[14:15], v[12:13]
	v_fma_f64 v[21:22], -v[12:13], v[14:15], 1.0
	v_fma_f64 v[14:15], v[14:15], v[21:22], v[14:15]
	v_fma_f64 v[21:22], -v[12:13], v[14:15], 1.0
	v_fma_f64 v[14:15], v[14:15], v[21:22], v[14:15]
	v_div_scale_f64 v[21:22], vcc, s[12:13], v[8:9], s[12:13]
	v_mul_f64 v[23:24], v[21:22], v[14:15]
	v_fma_f64 v[12:13], -v[12:13], v[23:24], v[21:22]
	s_nop 1
	v_div_fmas_f64 v[12:13], v[12:13], v[14:15], v[23:24]
	v_mov_b32_e32 v14, 0x66119130
	v_mov_b32_e32 v15, 0xbc5646da
	v_div_fixup_f64 v[12:13], v[12:13], v[8:9], s[12:13]
	s_mov_b32 s13, 0xbc60adb7
	s_mov_b32 s12, 0x54ca8b19
	v_add_f64 v[12:13], v[12:13], -2.0
	v_fma_f64 v[14:15], v[12:13], s[12:13], v[14:15]
	s_mov_b32 s13, 0x3c60adb7
	v_fma_f64 v[21:22], v[12:13], v[14:15], s[12:13]
	s_mov_b32 s12, 0x12d98421
	s_mov_b32 s13, 0x3c89be18
	v_add_f64 v[21:22], v[21:22], s[12:13]
	s_mov_b32 s12, 0x76041cd
	s_mov_b32 s13, 0x3c83f3dd
	v_fma_f64 v[14:15], v[12:13], v[21:22], -v[14:15]
	v_add_f64 v[14:15], v[14:15], s[12:13]
	s_mov_b32 s12, 0xabd21fe4
	s_mov_b32 s13, 0xbcb4600b
	v_fma_f64 v[21:22], v[12:13], v[14:15], -v[21:22]
	;; [unrolled: 4-line block ×22, first 2 shown]
	v_add_f64 v[12:13], v[12:13], s[12:13]
	s_mov_b32 s12, 0x652b82fe
	s_mov_b32 s13, 0x3ff71547
	v_mul_f64 v[14:15], v[8:9], s[12:13]
	s_mov_b32 s12, 0xfefa39ef
	s_mov_b32 s13, 0xbfe62e42
	v_add_f64 v[12:13], v[12:13], -v[21:22]
	v_rndne_f64_e32 v[14:15], v[14:15]
	v_mul_f64 v[12:13], v[12:13], 0.5
	v_fma_f64 v[23:24], v[14:15], s[12:13], v[8:9]
	s_mov_b32 s12, 0x3b39803f
	s_mov_b32 s13, 0xbc7abc9e
	v_fma_f64 v[23:24], v[14:15], s[12:13], v[23:24]
	s_mov_b32 s12, 0x6a5dcb37
	s_mov_b32 s13, 0x3e5ade15
	v_cvt_i32_f64_e32 v14, v[14:15]
	v_fma_f64 v[25:26], v[23:24], s[12:13], v[25:26]
	s_mov_b32 s12, 0x623fde64
	s_mov_b32 s13, 0x3ec71dee
	v_fma_f64 v[25:26], v[23:24], v[25:26], s[12:13]
	s_mov_b32 s12, 0x7c89e6b0
	s_mov_b32 s13, 0x3efa0199
	;; [unrolled: 3-line block ×9, first 2 shown]
	v_cmp_nlt_f64_e32 vcc, s[12:13], v[8:9]
	s_mov_b32 s12, 0
	s_brev_b32 s13, 8
	v_fma_f64 v[25:26], v[23:24], v[25:26], 1.0
	v_fma_f64 v[23:24], v[23:24], v[25:26], 1.0
	v_ldexp_f64 v[14:15], v[23:24], v14
	v_cndmask_b32_e32 v15, v19, v15, vcc
	v_cndmask_b32_e32 v14, 0, v14, vcc
	v_cmp_gt_f64_e32 vcc, s[12:13], v[8:9]
	v_mul_f64 v[12:13], v[14:15], v[12:13]
	v_mov_b32_e32 v14, 0x100
	v_mov_b32_e32 v19, 0xffffff80
	v_cndmask_b32_e32 v14, 0, v14, vcc
	v_ldexp_f64 v[8:9], v[8:9], v14
	v_cndmask_b32_e32 v19, 0, v19, vcc
	v_rsq_f64_e32 v[14:15], v[8:9]
	v_mul_f64 v[21:22], v[8:9], v[14:15]
	v_mul_f64 v[14:15], v[14:15], 0.5
	v_fma_f64 v[23:24], -v[14:15], v[21:22], 0.5
	v_fma_f64 v[21:22], v[21:22], v[23:24], v[21:22]
	v_fma_f64 v[14:15], v[14:15], v[23:24], v[14:15]
	v_fma_f64 v[25:26], -v[21:22], v[21:22], v[8:9]
	v_fma_f64 v[21:22], v[25:26], v[14:15], v[21:22]
	v_fma_f64 v[23:24], -v[21:22], v[21:22], v[8:9]
	v_fma_f64 v[14:15], v[23:24], v[14:15], v[21:22]
	v_ldexp_f64 v[14:15], v[14:15], v19
	v_mov_b32_e32 v19, 0x260
	v_cmp_class_f64_e32 vcc, v[8:9], v19
	v_cndmask_b32_e32 v9, v15, v9, vcc
	v_cndmask_b32_e32 v8, v14, v8, vcc
	v_div_scale_f64 v[14:15], s[12:13], v[8:9], v[8:9], v[12:13]
	v_rcp_f64_e32 v[21:22], v[14:15]
	v_fma_f64 v[23:24], -v[14:15], v[21:22], 1.0
	v_fma_f64 v[21:22], v[21:22], v[23:24], v[21:22]
	v_fma_f64 v[23:24], -v[14:15], v[21:22], 1.0
	v_fma_f64 v[21:22], v[21:22], v[23:24], v[21:22]
	v_div_scale_f64 v[23:24], vcc, v[12:13], v[8:9], v[12:13]
	v_mul_f64 v[25:26], v[23:24], v[21:22]
	v_fma_f64 v[14:15], -v[14:15], v[25:26], v[23:24]
	s_nop 1
	v_div_fmas_f64 v[14:15], v[14:15], v[21:22], v[25:26]
	v_div_fixup_f64 v[12:13], v[14:15], v[8:9], v[12:13]
.LBB0_25:
	s_or_b64 exec, exec, s[8:9]
.LBB0_26:
	s_or_b64 exec, exec, s[6:7]
	v_add_u32_e32 v8, 0x300, v20
	v_cmp_lt_i32_e32 vcc, v8, v4
	s_and_saveexec_b64 s[6:7], vcc
	s_cbranch_execnz .LBB0_32
; %bb.27:
	s_or_b64 exec, exec, s[6:7]
	s_and_saveexec_b64 s[6:7], s[4:5]
	s_xor_b64 s[4:5], exec, s[6:7]
	s_cbranch_execnz .LBB0_37
.LBB0_28:
	s_or_b64 exec, exec, s[4:5]
	v_cmp_lt_i32_e32 vcc, v20, v4
	s_and_saveexec_b64 s[4:5], vcc
	s_cbranch_execnz .LBB0_38
.LBB0_29:
	s_or_b64 exec, exec, s[4:5]
	v_cmp_lt_i32_e32 vcc, v20, v4
	s_and_saveexec_b64 s[4:5], vcc
	s_cbranch_execnz .LBB0_39
.LBB0_30:
	s_or_b64 exec, exec, s[4:5]
	v_cmp_lt_i32_e32 vcc, v20, v4
	s_and_saveexec_b64 s[4:5], vcc
	s_cbranch_execnz .LBB0_40
.LBB0_31:
	s_or_b64 exec, exec, s[4:5]
	s_waitcnt vmcnt(0) lgkmcnt(0)
	s_setpc_b64 s[30:31]
.LBB0_32:
	s_mov_b32 s8, 0
	s_mov_b32 s9, 0x40200000
	v_cmp_ge_f64_e32 vcc, s[8:9], v[6:7]
	s_and_saveexec_b64 s[8:9], vcc
	s_xor_b64 s[8:9], exec, s[8:9]
                                        ; implicit-def: $vgpr10_vgpr11
	s_cbranch_execz .LBB0_34
; %bb.33:
	v_fma_f64 v[8:9], v[6:7], 0.5, -2.0
	v_mov_b32_e32 v10, 0x977da589
	v_mov_b32_e32 v11, 0x3c833362
	s_mov_b32 s13, 0xbc545cb7
	s_mov_b32 s12, 0x2134d0ef
	;; [unrolled: 1-line block ×4, first 2 shown]
	v_mov_b32_e32 v23, 0xfca7ab0c
	v_fma_f64 v[10:11], v[8:9], s[12:13], v[10:11]
	s_mov_b32 s13, 0x3c545cb7
	v_mov_b32_e32 v24, 0x3e928af3
	v_fma_f64 v[14:15], v[8:9], v[10:11], s[12:13]
	s_mov_b32 s12, 0x721ebbb4
	s_mov_b32 s13, 0xbcb184eb
	v_add_f64 v[14:15], v[14:15], s[12:13]
	s_mov_b32 s12, 0x93f65eba
	s_mov_b32 s13, 0x3cdee6d8
	v_fma_f64 v[10:11], v[8:9], v[14:15], -v[10:11]
	v_add_f64 v[10:11], v[10:11], s[12:13]
	s_mov_b32 s12, 0xc297fbeb
	s_mov_b32 s13, 0xbd0a5022
	v_fma_f64 v[14:15], v[8:9], v[10:11], -v[14:15]
	;; [unrolled: 4-line block ×20, first 2 shown]
	v_add_f64 v[14:15], v[14:15], s[12:13]
	s_mov_b32 s12, 0x652b82fe
	s_mov_b32 s13, 0x3ff71547
	v_mul_f64 v[21:22], v[6:7], s[12:13]
	s_mov_b32 s12, 0xf3dde3dd
	s_mov_b32 s13, 0x3f859961
	v_fma_f64 v[10:11], v[8:9], v[14:15], -v[10:11]
	v_rndne_f64_e32 v[21:22], v[21:22]
	v_add_f64 v[10:11], v[10:11], s[12:13]
	s_mov_b32 s12, 0xfefa39ef
	s_mov_b32 s13, 0xbfe62e42
	v_fma_f64 v[6:7], v[21:22], s[12:13], v[6:7]
	s_mov_b32 s12, 0xf121b6f0
	s_mov_b32 s13, 0xbf984e9e
	v_fma_f64 v[14:15], v[8:9], v[10:11], -v[14:15]
	v_fma_f64 v[6:7], v[21:22], s[14:15], v[6:7]
	s_mov_b32 s14, 0x623fde64
	s_mov_b32 s15, 0x3ec71dee
	v_add_f64 v[14:15], v[14:15], s[12:13]
	s_mov_b32 s12, 0x6a5dcb37
	s_mov_b32 s13, 0x3e5ade15
	v_fma_f64 v[23:24], v[6:7], s[12:13], v[23:24]
	s_mov_b32 s12, 0xcea8a32d
	s_mov_b32 s13, 0x3fa93e8a
	v_fma_f64 v[10:11], v[8:9], v[14:15], -v[10:11]
	v_fma_f64 v[23:24], v[6:7], v[23:24], s[14:15]
	s_mov_b32 s14, 0x14761f6e
	s_mov_b32 s15, 0x3f2a01a0
	;; [unrolled: 10-line block ×4, first 2 shown]
	v_add_f64 v[10:11], v[10:11], s[12:13]
	s_mov_b32 s12, 0x555502a1
	s_mov_b32 s13, 0x3fa55555
	v_fma_f64 v[23:24], v[6:7], v[23:24], s[12:13]
	s_mov_b32 s12, 0xc057cd8d
	s_mov_b32 s13, 0xbfd37feb
	v_fma_f64 v[14:15], v[8:9], v[10:11], -v[14:15]
	v_fma_f64 v[23:24], v[6:7], v[23:24], s[14:15]
	v_add_f64 v[14:15], v[14:15], s[12:13]
	s_mov_b32 s12, 11
	s_mov_b32 s13, 0x3fe00000
	v_fma_f64 v[23:24], v[6:7], v[23:24], s[12:13]
	s_mov_b32 s12, 0x9035a22a
	s_mov_b32 s13, 0x3fe5a84e
	v_fma_f64 v[8:9], v[8:9], v[14:15], -v[10:11]
	v_fma_f64 v[14:15], v[6:7], v[23:24], 1.0
	v_add_f64 v[8:9], v[8:9], s[12:13]
	v_fma_f64 v[6:7], v[6:7], v[14:15], 1.0
	v_add_f64 v[8:9], v[8:9], -v[10:11]
	v_cvt_i32_f64_e32 v10, v[21:22]
	v_ldexp_f64 v[6:7], v[6:7], v10
	v_mul_f64 v[8:9], v[8:9], 0.5
	v_mul_f64 v[10:11], v[6:7], v[8:9]
                                        ; implicit-def: $vgpr6_vgpr7
.LBB0_34:
	s_andn2_saveexec_b64 s[8:9], s[8:9]
	s_cbranch_execz .LBB0_36
; %bb.35:
	s_mov_b32 s12, 0
	s_mov_b32 s13, 0x40400000
	v_div_scale_f64 v[8:9], s[14:15], v[6:7], v[6:7], s[12:13]
	v_mov_b32_e32 v23, 0xfca7ab0c
	v_mov_b32_e32 v24, 0x3e928af3
	;; [unrolled: 1-line block ×3, first 2 shown]
	v_rcp_f64_e32 v[10:11], v[8:9]
	v_fma_f64 v[14:15], -v[8:9], v[10:11], 1.0
	v_fma_f64 v[10:11], v[10:11], v[14:15], v[10:11]
	v_fma_f64 v[14:15], -v[8:9], v[10:11], 1.0
	v_fma_f64 v[10:11], v[10:11], v[14:15], v[10:11]
	v_div_scale_f64 v[14:15], vcc, s[12:13], v[6:7], s[12:13]
	v_mul_f64 v[21:22], v[14:15], v[10:11]
	v_fma_f64 v[8:9], -v[8:9], v[21:22], v[14:15]
	s_nop 1
	v_div_fmas_f64 v[8:9], v[8:9], v[10:11], v[21:22]
	v_mov_b32_e32 v10, 0x66119130
	v_mov_b32_e32 v11, 0xbc5646da
	v_div_fixup_f64 v[8:9], v[8:9], v[6:7], s[12:13]
	s_mov_b32 s13, 0xbc60adb7
	s_mov_b32 s12, 0x54ca8b19
	v_add_f64 v[8:9], v[8:9], -2.0
	v_fma_f64 v[10:11], v[8:9], s[12:13], v[10:11]
	s_mov_b32 s13, 0x3c60adb7
	v_fma_f64 v[14:15], v[8:9], v[10:11], s[12:13]
	s_mov_b32 s12, 0x12d98421
	s_mov_b32 s13, 0x3c89be18
	v_add_f64 v[14:15], v[14:15], s[12:13]
	s_mov_b32 s12, 0x76041cd
	s_mov_b32 s13, 0x3c83f3dd
	v_fma_f64 v[10:11], v[8:9], v[14:15], -v[10:11]
	v_add_f64 v[10:11], v[10:11], s[12:13]
	s_mov_b32 s12, 0xabd21fe4
	s_mov_b32 s13, 0xbcb4600b
	v_fma_f64 v[14:15], v[8:9], v[10:11], -v[14:15]
	;; [unrolled: 4-line block ×22, first 2 shown]
	v_add_f64 v[8:9], v[8:9], s[12:13]
	s_mov_b32 s12, 0x652b82fe
	s_mov_b32 s13, 0x3ff71547
	v_mul_f64 v[10:11], v[6:7], s[12:13]
	s_mov_b32 s12, 0xfefa39ef
	s_mov_b32 s13, 0xbfe62e42
	v_add_f64 v[8:9], v[8:9], -v[14:15]
	v_rndne_f64_e32 v[10:11], v[10:11]
	v_mul_f64 v[8:9], v[8:9], 0.5
	v_fma_f64 v[21:22], v[10:11], s[12:13], v[6:7]
	s_mov_b32 s12, 0x3b39803f
	s_mov_b32 s13, 0xbc7abc9e
	v_fma_f64 v[21:22], v[10:11], s[12:13], v[21:22]
	s_mov_b32 s12, 0x6a5dcb37
	s_mov_b32 s13, 0x3e5ade15
	v_cvt_i32_f64_e32 v10, v[10:11]
	v_fma_f64 v[23:24], v[21:22], s[12:13], v[23:24]
	s_mov_b32 s12, 0x623fde64
	s_mov_b32 s13, 0x3ec71dee
	v_fma_f64 v[23:24], v[21:22], v[23:24], s[12:13]
	s_mov_b32 s12, 0x7c89e6b0
	s_mov_b32 s13, 0x3efa0199
	;; [unrolled: 3-line block ×9, first 2 shown]
	v_cmp_nlt_f64_e32 vcc, s[12:13], v[6:7]
	s_mov_b32 s12, 0
	s_brev_b32 s13, 8
	v_fma_f64 v[23:24], v[21:22], v[23:24], 1.0
	v_fma_f64 v[21:22], v[21:22], v[23:24], 1.0
	v_ldexp_f64 v[10:11], v[21:22], v10
	v_cndmask_b32_e32 v11, v19, v11, vcc
	v_cndmask_b32_e32 v10, 0, v10, vcc
	v_cmp_gt_f64_e32 vcc, s[12:13], v[6:7]
	v_mul_f64 v[8:9], v[10:11], v[8:9]
	v_mov_b32_e32 v10, 0x100
	v_cndmask_b32_e32 v10, 0, v10, vcc
	v_ldexp_f64 v[6:7], v[6:7], v10
	v_rsq_f64_e32 v[10:11], v[6:7]
	v_mul_f64 v[14:15], v[6:7], v[10:11]
	v_mul_f64 v[10:11], v[10:11], 0.5
	v_fma_f64 v[21:22], -v[10:11], v[14:15], 0.5
	v_fma_f64 v[14:15], v[14:15], v[21:22], v[14:15]
	v_fma_f64 v[10:11], v[10:11], v[21:22], v[10:11]
	v_fma_f64 v[23:24], -v[14:15], v[14:15], v[6:7]
	v_fma_f64 v[14:15], v[23:24], v[10:11], v[14:15]
	v_fma_f64 v[21:22], -v[14:15], v[14:15], v[6:7]
	v_fma_f64 v[10:11], v[21:22], v[10:11], v[14:15]
	v_mov_b32_e32 v14, 0xffffff80
	v_cndmask_b32_e32 v14, 0, v14, vcc
	v_ldexp_f64 v[10:11], v[10:11], v14
	v_mov_b32_e32 v14, 0x260
	v_cmp_class_f64_e32 vcc, v[6:7], v14
	v_cndmask_b32_e32 v7, v11, v7, vcc
	v_cndmask_b32_e32 v6, v10, v6, vcc
	v_div_scale_f64 v[10:11], s[12:13], v[6:7], v[6:7], v[8:9]
	v_rcp_f64_e32 v[14:15], v[10:11]
	v_fma_f64 v[21:22], -v[10:11], v[14:15], 1.0
	v_fma_f64 v[14:15], v[14:15], v[21:22], v[14:15]
	v_fma_f64 v[21:22], -v[10:11], v[14:15], 1.0
	v_fma_f64 v[14:15], v[14:15], v[21:22], v[14:15]
	v_div_scale_f64 v[21:22], vcc, v[8:9], v[6:7], v[8:9]
	v_mul_f64 v[23:24], v[21:22], v[14:15]
	v_fma_f64 v[10:11], -v[10:11], v[23:24], v[21:22]
	s_nop 1
	v_div_fmas_f64 v[10:11], v[10:11], v[14:15], v[23:24]
	v_div_fixup_f64 v[10:11], v[10:11], v[6:7], v[8:9]
.LBB0_36:
	s_or_b64 exec, exec, s[8:9]
	s_or_b64 exec, exec, s[6:7]
	s_and_saveexec_b64 s[6:7], s[4:5]
	s_xor_b64 s[4:5], exec, s[6:7]
	s_cbranch_execz .LBB0_28
.LBB0_37:
	v_mov_b32_e32 v6, 0
	v_lshlrev_b64 v[5:6], 3, v[5:6]
	v_mov_b32_e32 v20, v18
	v_add_co_u32_e32 v5, vcc, v0, v5
	v_addc_co_u32_e32 v6, vcc, v1, v6, vcc
	flat_store_dwordx2 v[5:6], v[2:3]
	s_or_b64 exec, exec, s[4:5]
	v_cmp_lt_i32_e32 vcc, v20, v4
	s_and_saveexec_b64 s[4:5], vcc
	s_cbranch_execz .LBB0_29
.LBB0_38:
	v_add_u32_e32 v2, s10, v20
	v_mov_b32_e32 v3, 0
	v_lshlrev_b64 v[2:3], 3, v[2:3]
	v_add_u32_e32 v20, 0x100, v20
	v_add_co_u32_e32 v2, vcc, v0, v2
	v_addc_co_u32_e32 v3, vcc, v1, v3, vcc
	flat_store_dwordx2 v[2:3], v[16:17]
	s_or_b64 exec, exec, s[4:5]
	v_cmp_lt_i32_e32 vcc, v20, v4
	s_and_saveexec_b64 s[4:5], vcc
	s_cbranch_execz .LBB0_30
.LBB0_39:
	v_add_u32_e32 v2, s10, v20
	v_mov_b32_e32 v3, 0
	v_lshlrev_b64 v[2:3], 3, v[2:3]
	v_add_u32_e32 v20, 0x100, v20
	v_add_co_u32_e32 v2, vcc, v0, v2
	v_addc_co_u32_e32 v3, vcc, v1, v3, vcc
	flat_store_dwordx2 v[2:3], v[12:13]
	s_or_b64 exec, exec, s[4:5]
	v_cmp_lt_i32_e32 vcc, v20, v4
	s_and_saveexec_b64 s[4:5], vcc
	s_cbranch_execz .LBB0_31
.LBB0_40:
	v_add_u32_e32 v2, s10, v20
	v_mov_b32_e32 v3, 0
	v_lshlrev_b64 v[2:3], 3, v[2:3]
	v_add_co_u32_e32 v0, vcc, v0, v2
	v_addc_co_u32_e32 v1, vcc, v1, v3, vcc
	flat_store_dwordx2 v[0:1], v[10:11]
	s_or_b64 exec, exec, s[4:5]
	s_waitcnt vmcnt(0) lgkmcnt(0)
	s_setpc_b64 s[30:31]
.Lfunc_end0:
	.size	_ZN2at6native25elementwise_kernel_helperILb0EZZZNS0_12_GLOBAL__N_130modified_bessel_i0_kernel_cudaERNS_18TensorIteratorBaseEENKUlvE_clEvENKUlvE_clEvEUldE_NS0_6memory8policies11unroll_baseILi256ESt5arrayIPcLm2EE23TrivialOffsetCalculatorILi1EjESF_NS8_15LoadWithoutCastENS8_16StoreWithoutCastELi4ELi1EEEEEvT0_T1_, .Lfunc_end0-_ZN2at6native25elementwise_kernel_helperILb0EZZZNS0_12_GLOBAL__N_130modified_bessel_i0_kernel_cudaERNS_18TensorIteratorBaseEENKUlvE_clEvENKUlvE_clEvEUldE_NS0_6memory8policies11unroll_baseILi256ESt5arrayIPcLm2EE23TrivialOffsetCalculatorILi1EjESF_NS8_15LoadWithoutCastENS8_16StoreWithoutCastELi4ELi1EEEEEvT0_T1_
                                        ; -- End function
	.set .L_ZN2at6native25elementwise_kernel_helperILb0EZZZNS0_12_GLOBAL__N_130modified_bessel_i0_kernel_cudaERNS_18TensorIteratorBaseEENKUlvE_clEvENKUlvE_clEvEUldE_NS0_6memory8policies11unroll_baseILi256ESt5arrayIPcLm2EE23TrivialOffsetCalculatorILi1EjESF_NS8_15LoadWithoutCastENS8_16StoreWithoutCastELi4ELi1EEEEEvT0_T1_.num_vgpr, 32
	.set .L_ZN2at6native25elementwise_kernel_helperILb0EZZZNS0_12_GLOBAL__N_130modified_bessel_i0_kernel_cudaERNS_18TensorIteratorBaseEENKUlvE_clEvENKUlvE_clEvEUldE_NS0_6memory8policies11unroll_baseILi256ESt5arrayIPcLm2EE23TrivialOffsetCalculatorILi1EjESF_NS8_15LoadWithoutCastENS8_16StoreWithoutCastELi4ELi1EEEEEvT0_T1_.num_agpr, 0
	.set .L_ZN2at6native25elementwise_kernel_helperILb0EZZZNS0_12_GLOBAL__N_130modified_bessel_i0_kernel_cudaERNS_18TensorIteratorBaseEENKUlvE_clEvENKUlvE_clEvEUldE_NS0_6memory8policies11unroll_baseILi256ESt5arrayIPcLm2EE23TrivialOffsetCalculatorILi1EjESF_NS8_15LoadWithoutCastENS8_16StoreWithoutCastELi4ELi1EEEEEvT0_T1_.numbered_sgpr, 32
	.set .L_ZN2at6native25elementwise_kernel_helperILb0EZZZNS0_12_GLOBAL__N_130modified_bessel_i0_kernel_cudaERNS_18TensorIteratorBaseEENKUlvE_clEvENKUlvE_clEvEUldE_NS0_6memory8policies11unroll_baseILi256ESt5arrayIPcLm2EE23TrivialOffsetCalculatorILi1EjESF_NS8_15LoadWithoutCastENS8_16StoreWithoutCastELi4ELi1EEEEEvT0_T1_.num_named_barrier, 0
	.set .L_ZN2at6native25elementwise_kernel_helperILb0EZZZNS0_12_GLOBAL__N_130modified_bessel_i0_kernel_cudaERNS_18TensorIteratorBaseEENKUlvE_clEvENKUlvE_clEvEUldE_NS0_6memory8policies11unroll_baseILi256ESt5arrayIPcLm2EE23TrivialOffsetCalculatorILi1EjESF_NS8_15LoadWithoutCastENS8_16StoreWithoutCastELi4ELi1EEEEEvT0_T1_.private_seg_size, 0
	.set .L_ZN2at6native25elementwise_kernel_helperILb0EZZZNS0_12_GLOBAL__N_130modified_bessel_i0_kernel_cudaERNS_18TensorIteratorBaseEENKUlvE_clEvENKUlvE_clEvEUldE_NS0_6memory8policies11unroll_baseILi256ESt5arrayIPcLm2EE23TrivialOffsetCalculatorILi1EjESF_NS8_15LoadWithoutCastENS8_16StoreWithoutCastELi4ELi1EEEEEvT0_T1_.uses_vcc, 1
	.set .L_ZN2at6native25elementwise_kernel_helperILb0EZZZNS0_12_GLOBAL__N_130modified_bessel_i0_kernel_cudaERNS_18TensorIteratorBaseEENKUlvE_clEvENKUlvE_clEvEUldE_NS0_6memory8policies11unroll_baseILi256ESt5arrayIPcLm2EE23TrivialOffsetCalculatorILi1EjESF_NS8_15LoadWithoutCastENS8_16StoreWithoutCastELi4ELi1EEEEEvT0_T1_.uses_flat_scratch, 0
	.set .L_ZN2at6native25elementwise_kernel_helperILb0EZZZNS0_12_GLOBAL__N_130modified_bessel_i0_kernel_cudaERNS_18TensorIteratorBaseEENKUlvE_clEvENKUlvE_clEvEUldE_NS0_6memory8policies11unroll_baseILi256ESt5arrayIPcLm2EE23TrivialOffsetCalculatorILi1EjESF_NS8_15LoadWithoutCastENS8_16StoreWithoutCastELi4ELi1EEEEEvT0_T1_.has_dyn_sized_stack, 0
	.set .L_ZN2at6native25elementwise_kernel_helperILb0EZZZNS0_12_GLOBAL__N_130modified_bessel_i0_kernel_cudaERNS_18TensorIteratorBaseEENKUlvE_clEvENKUlvE_clEvEUldE_NS0_6memory8policies11unroll_baseILi256ESt5arrayIPcLm2EE23TrivialOffsetCalculatorILi1EjESF_NS8_15LoadWithoutCastENS8_16StoreWithoutCastELi4ELi1EEEEEvT0_T1_.has_recursion, 0
	.set .L_ZN2at6native25elementwise_kernel_helperILb0EZZZNS0_12_GLOBAL__N_130modified_bessel_i0_kernel_cudaERNS_18TensorIteratorBaseEENKUlvE_clEvENKUlvE_clEvEUldE_NS0_6memory8policies11unroll_baseILi256ESt5arrayIPcLm2EE23TrivialOffsetCalculatorILi1EjESF_NS8_15LoadWithoutCastENS8_16StoreWithoutCastELi4ELi1EEEEEvT0_T1_.has_indirect_call, 0
	.section	.AMDGPU.csdata,"",@progbits
; Function info:
; codeLenInByte = 12208
; TotalNumSgprs: 36
; NumVgprs: 32
; ScratchSize: 0
; MemoryBound: 0
	.text
	.p2align	2                               ; -- Begin function _ZN2at6native25elementwise_kernel_helperILb0EZZZNS0_12_GLOBAL__N_130modified_bessel_i0_kernel_cudaERNS_18TensorIteratorBaseEENKUlvE_clEvENKUlvE_clEvEUldE_NS0_6memory8policies10vectorizedILi4ESt5arrayIPcLm2EELi4EEEEEvT0_T1_
	.type	_ZN2at6native25elementwise_kernel_helperILb0EZZZNS0_12_GLOBAL__N_130modified_bessel_i0_kernel_cudaERNS_18TensorIteratorBaseEENKUlvE_clEvENKUlvE_clEvEUldE_NS0_6memory8policies10vectorizedILi4ESt5arrayIPcLm2EELi4EEEEEvT0_T1_,@function
_ZN2at6native25elementwise_kernel_helperILb0EZZZNS0_12_GLOBAL__N_130modified_bessel_i0_kernel_cudaERNS_18TensorIteratorBaseEENKUlvE_clEvENKUlvE_clEvEUldE_NS0_6memory8policies10vectorizedILi4ESt5arrayIPcLm2EELi4EEEEEvT0_T1_: ; @_ZN2at6native25elementwise_kernel_helperILb0EZZZNS0_12_GLOBAL__N_130modified_bessel_i0_kernel_cudaERNS_18TensorIteratorBaseEENKUlvE_clEvENKUlvE_clEvEUldE_NS0_6memory8policies10vectorizedILi4ESt5arrayIPcLm2EELi4EEEEEvT0_T1_
; %bb.0:
	s_waitcnt vmcnt(0) expcnt(0) lgkmcnt(0)
	s_lshl_b32 s4, s12, 10
	s_ashr_i32 s5, s4, 31
	s_lshl_b64 s[4:5], s[4:5], 3
	v_mov_b32_e32 v4, s5
	v_add_co_u32_e32 v2, vcc, s4, v2
	v_addc_co_u32_e32 v3, vcc, v3, v4, vcc
	v_and_b32_e32 v4, 0x3ff, v31
	v_lshlrev_b32_e32 v14, 5, v4
	v_add_co_u32_e32 v6, vcc, v2, v14
	v_addc_co_u32_e32 v7, vcc, 0, v3, vcc
	flat_load_dwordx4 v[8:11], v[6:7]
	flat_load_dwordx4 v[2:5], v[6:7] offset:16
	s_mov_b32 s6, 0
	s_mov_b32 s7, 0x40200000
                                        ; implicit-def: $vgpr6_vgpr7
	s_waitcnt vmcnt(0) lgkmcnt(0)
	v_cmp_le_f64_e64 s[6:7], |v[8:9]|, s[6:7]
	s_and_saveexec_b64 s[8:9], s[6:7]
	s_xor_b64 s[6:7], exec, s[8:9]
	s_cbranch_execz .LBB1_2
; %bb.1:
	v_fma_f64 v[6:7], |v[8:9]|, 0.5, -2.0
	v_mov_b32_e32 v12, 0x977da589
	v_mov_b32_e32 v13, 0x3c833362
	s_mov_b32 s9, 0xbc545cb7
	s_mov_b32 s8, 0x2134d0ef
	;; [unrolled: 1-line block ×4, first 2 shown]
	v_mov_b32_e32 v21, 0xfca7ab0c
	v_fma_f64 v[12:13], v[6:7], s[8:9], v[12:13]
	s_mov_b32 s9, 0x3c545cb7
	v_mov_b32_e32 v22, 0x3e928af3
	v_fma_f64 v[15:16], v[6:7], v[12:13], s[8:9]
	s_mov_b32 s8, 0x721ebbb4
	s_mov_b32 s9, 0xbcb184eb
	v_add_f64 v[15:16], v[15:16], s[8:9]
	s_mov_b32 s8, 0x93f65eba
	s_mov_b32 s9, 0x3cdee6d8
	v_fma_f64 v[12:13], v[6:7], v[15:16], -v[12:13]
	v_add_f64 v[12:13], v[12:13], s[8:9]
	s_mov_b32 s8, 0xc297fbeb
	s_mov_b32 s9, 0xbd0a5022
	v_fma_f64 v[15:16], v[6:7], v[12:13], -v[15:16]
	;; [unrolled: 4-line block ×20, first 2 shown]
	v_add_f64 v[15:16], v[15:16], s[8:9]
	s_mov_b32 s8, 0x652b82fe
	s_mov_b32 s9, 0x3ff71547
	v_mul_f64 v[17:18], |v[8:9]|, s[8:9]
	s_mov_b32 s8, 0xf3dde3dd
	s_mov_b32 s9, 0x3f859961
	v_fma_f64 v[12:13], v[6:7], v[15:16], -v[12:13]
	v_rndne_f64_e32 v[17:18], v[17:18]
	v_add_f64 v[12:13], v[12:13], s[8:9]
	s_mov_b32 s8, 0xfefa39ef
	s_mov_b32 s9, 0xbfe62e42
	v_fma_f64 v[19:20], v[17:18], s[8:9], |v[8:9]|
	s_mov_b32 s8, 0xf121b6f0
	s_mov_b32 s9, 0xbf984e9e
	v_fma_f64 v[15:16], v[6:7], v[12:13], -v[15:16]
	v_fma_f64 v[19:20], v[17:18], s[10:11], v[19:20]
	s_mov_b32 s10, 0x623fde64
	s_mov_b32 s11, 0x3ec71dee
	v_add_f64 v[15:16], v[15:16], s[8:9]
	s_mov_b32 s8, 0x6a5dcb37
	s_mov_b32 s9, 0x3e5ade15
	v_fma_f64 v[21:22], v[19:20], s[8:9], v[21:22]
	s_mov_b32 s8, 0xcea8a32d
	s_mov_b32 s9, 0x3fa93e8a
	v_fma_f64 v[12:13], v[6:7], v[15:16], -v[12:13]
	v_fma_f64 v[21:22], v[19:20], v[21:22], s[10:11]
	s_mov_b32 s10, 0x14761f6e
	s_mov_b32 s11, 0x3f2a01a0
	v_add_f64 v[12:13], v[12:13], s[8:9]
	s_mov_b32 s8, 0x7c89e6b0
	s_mov_b32 s9, 0x3efa0199
	v_fma_f64 v[21:22], v[19:20], v[21:22], s[8:9]
	;; [unrolled: 10-line block ×4, first 2 shown]
	s_mov_b32 s8, 0xc057cd8d
	s_mov_b32 s9, 0xbfd37feb
	v_fma_f64 v[15:16], v[6:7], v[12:13], -v[15:16]
	v_fma_f64 v[21:22], v[19:20], v[21:22], s[10:11]
	v_add_f64 v[15:16], v[15:16], s[8:9]
	s_mov_b32 s8, 11
	s_mov_b32 s9, 0x3fe00000
	v_fma_f64 v[21:22], v[19:20], v[21:22], s[8:9]
	s_mov_b32 s8, 0x9035a22a
	s_mov_b32 s9, 0x3fe5a84e
	v_fma_f64 v[6:7], v[6:7], v[15:16], -v[12:13]
	v_fma_f64 v[15:16], v[19:20], v[21:22], 1.0
	v_add_f64 v[6:7], v[6:7], s[8:9]
	v_fma_f64 v[15:16], v[19:20], v[15:16], 1.0
	v_add_f64 v[6:7], v[6:7], -v[12:13]
	v_cvt_i32_f64_e32 v12, v[17:18]
	v_ldexp_f64 v[12:13], v[15:16], v12
	v_mul_f64 v[6:7], v[6:7], 0.5
	v_mul_f64 v[6:7], v[12:13], v[6:7]
.LBB1_2:
	s_andn2_saveexec_b64 s[6:7], s[6:7]
	s_cbranch_execz .LBB1_4
; %bb.3:
	s_mov_b32 s8, 0
	v_and_b32_e32 v7, 0x7fffffff, v9
	v_mov_b32_e32 v6, v8
	s_mov_b32 s9, 0x40400000
	v_div_scale_f64 v[12:13], s[10:11], v[6:7], v[6:7], s[8:9]
	v_div_scale_f64 v[6:7], vcc, s[8:9], v[6:7], s[8:9]
	v_mov_b32_e32 v19, 0xfca7ab0c
	v_mov_b32_e32 v20, 0x3e928af3
	v_rcp_f64_e32 v[15:16], v[12:13]
	v_fma_f64 v[17:18], -v[12:13], v[15:16], 1.0
	v_fma_f64 v[15:16], v[15:16], v[17:18], v[15:16]
	v_fma_f64 v[17:18], -v[12:13], v[15:16], 1.0
	v_fma_f64 v[15:16], v[15:16], v[17:18], v[15:16]
	v_mul_f64 v[17:18], v[6:7], v[15:16]
	v_fma_f64 v[6:7], -v[12:13], v[17:18], v[6:7]
	v_mov_b32_e32 v12, 0x66119130
	v_mov_b32_e32 v13, 0xbc5646da
	v_div_fmas_f64 v[6:7], v[6:7], v[15:16], v[17:18]
	v_div_fixup_f64 v[6:7], v[6:7], |v[8:9]|, s[8:9]
	s_mov_b32 s9, 0xbc60adb7
	s_mov_b32 s8, 0x54ca8b19
	v_add_f64 v[6:7], v[6:7], -2.0
	v_fma_f64 v[12:13], v[6:7], s[8:9], v[12:13]
	s_mov_b32 s9, 0x3c60adb7
	v_fma_f64 v[15:16], v[6:7], v[12:13], s[8:9]
	s_mov_b32 s8, 0x12d98421
	s_mov_b32 s9, 0x3c89be18
	v_add_f64 v[15:16], v[15:16], s[8:9]
	s_mov_b32 s8, 0x76041cd
	s_mov_b32 s9, 0x3c83f3dd
	v_fma_f64 v[12:13], v[6:7], v[15:16], -v[12:13]
	v_add_f64 v[12:13], v[12:13], s[8:9]
	s_mov_b32 s8, 0xabd21fe4
	s_mov_b32 s9, 0xbcb4600b
	v_fma_f64 v[15:16], v[6:7], v[12:13], -v[15:16]
	;; [unrolled: 4-line block ×22, first 2 shown]
	v_add_f64 v[6:7], v[6:7], s[8:9]
	s_mov_b32 s8, 0x652b82fe
	s_mov_b32 s9, 0x3ff71547
	v_mul_f64 v[12:13], |v[8:9]|, s[8:9]
	s_mov_b32 s8, 0xfefa39ef
	s_mov_b32 s9, 0xbfe62e42
	v_add_f64 v[6:7], v[6:7], -v[15:16]
	v_rndne_f64_e32 v[12:13], v[12:13]
	v_mul_f64 v[6:7], v[6:7], 0.5
	v_fma_f64 v[17:18], v[12:13], s[8:9], |v[8:9]|
	s_mov_b32 s8, 0x3b39803f
	s_mov_b32 s9, 0xbc7abc9e
	v_fma_f64 v[17:18], v[12:13], s[8:9], v[17:18]
	s_mov_b32 s8, 0x6a5dcb37
	s_mov_b32 s9, 0x3e5ade15
	v_cvt_i32_f64_e32 v12, v[12:13]
	v_fma_f64 v[19:20], v[17:18], s[8:9], v[19:20]
	s_mov_b32 s8, 0x623fde64
	s_mov_b32 s9, 0x3ec71dee
	v_fma_f64 v[19:20], v[17:18], v[19:20], s[8:9]
	s_mov_b32 s8, 0x7c89e6b0
	s_mov_b32 s9, 0x3efa0199
	;; [unrolled: 3-line block ×9, first 2 shown]
	v_cmp_ngt_f64_e64 vcc, |v[8:9]|, s[8:9]
	s_mov_b32 s8, 0
	s_brev_b32 s9, 8
	v_fma_f64 v[19:20], v[17:18], v[19:20], 1.0
	v_fma_f64 v[17:18], v[17:18], v[19:20], 1.0
	v_ldexp_f64 v[12:13], v[17:18], v12
	v_mov_b32_e32 v17, 0x7ff00000
	v_cndmask_b32_e32 v13, v17, v13, vcc
	v_cndmask_b32_e32 v12, 0, v12, vcc
	v_cmp_lt_f64_e64 vcc, |v[8:9]|, s[8:9]
	v_mul_f64 v[6:7], v[12:13], v[6:7]
	v_mov_b32_e32 v12, 0x100
	v_cndmask_b32_e32 v12, 0, v12, vcc
	v_ldexp_f64 v[8:9], |v[8:9]|, v12
	v_rsq_f64_e32 v[12:13], v[8:9]
	v_mul_f64 v[15:16], v[8:9], v[12:13]
	v_mul_f64 v[12:13], v[12:13], 0.5
	v_fma_f64 v[17:18], -v[12:13], v[15:16], 0.5
	v_fma_f64 v[15:16], v[15:16], v[17:18], v[15:16]
	v_fma_f64 v[12:13], v[12:13], v[17:18], v[12:13]
	v_fma_f64 v[19:20], -v[15:16], v[15:16], v[8:9]
	v_fma_f64 v[15:16], v[19:20], v[12:13], v[15:16]
	v_fma_f64 v[17:18], -v[15:16], v[15:16], v[8:9]
	v_fma_f64 v[12:13], v[17:18], v[12:13], v[15:16]
	v_mov_b32_e32 v15, 0xffffff80
	v_cndmask_b32_e32 v15, 0, v15, vcc
	v_ldexp_f64 v[12:13], v[12:13], v15
	v_mov_b32_e32 v15, 0x260
	v_cmp_class_f64_e32 vcc, v[8:9], v15
	v_cndmask_b32_e32 v9, v13, v9, vcc
	v_cndmask_b32_e32 v8, v12, v8, vcc
	v_div_scale_f64 v[12:13], s[8:9], v[8:9], v[8:9], v[6:7]
	v_rcp_f64_e32 v[15:16], v[12:13]
	v_fma_f64 v[17:18], -v[12:13], v[15:16], 1.0
	v_fma_f64 v[15:16], v[15:16], v[17:18], v[15:16]
	v_fma_f64 v[17:18], -v[12:13], v[15:16], 1.0
	v_fma_f64 v[15:16], v[15:16], v[17:18], v[15:16]
	v_div_scale_f64 v[17:18], vcc, v[6:7], v[8:9], v[6:7]
	v_mul_f64 v[19:20], v[17:18], v[15:16]
	v_fma_f64 v[12:13], -v[12:13], v[19:20], v[17:18]
	s_nop 1
	v_div_fmas_f64 v[12:13], v[12:13], v[15:16], v[19:20]
	v_div_fixup_f64 v[6:7], v[12:13], v[8:9], v[6:7]
.LBB1_4:
	s_or_b64 exec, exec, s[6:7]
	s_mov_b32 s6, 0
	s_mov_b32 s7, 0x40200000
	v_cmp_le_f64_e64 s[6:7], |v[10:11]|, s[6:7]
	s_and_saveexec_b64 s[8:9], s[6:7]
	s_xor_b64 s[6:7], exec, s[8:9]
	s_cbranch_execz .LBB1_6
; %bb.5:
	v_fma_f64 v[8:9], |v[10:11]|, 0.5, -2.0
	v_mov_b32_e32 v12, 0x977da589
	v_mov_b32_e32 v13, 0x3c833362
	s_mov_b32 s9, 0xbc545cb7
	s_mov_b32 s8, 0x2134d0ef
	;; [unrolled: 1-line block ×4, first 2 shown]
	v_mov_b32_e32 v19, 0xfca7ab0c
	v_fma_f64 v[12:13], v[8:9], s[8:9], v[12:13]
	s_mov_b32 s9, 0x3c545cb7
	v_mov_b32_e32 v20, 0x3e928af3
	v_fma_f64 v[15:16], v[8:9], v[12:13], s[8:9]
	s_mov_b32 s8, 0x721ebbb4
	s_mov_b32 s9, 0xbcb184eb
	v_add_f64 v[15:16], v[15:16], s[8:9]
	s_mov_b32 s8, 0x93f65eba
	s_mov_b32 s9, 0x3cdee6d8
	v_fma_f64 v[12:13], v[8:9], v[15:16], -v[12:13]
	v_add_f64 v[12:13], v[12:13], s[8:9]
	s_mov_b32 s8, 0xc297fbeb
	s_mov_b32 s9, 0xbd0a5022
	v_fma_f64 v[15:16], v[8:9], v[12:13], -v[15:16]
	;; [unrolled: 4-line block ×20, first 2 shown]
	v_add_f64 v[15:16], v[15:16], s[8:9]
	s_mov_b32 s8, 0x652b82fe
	s_mov_b32 s9, 0x3ff71547
	v_mul_f64 v[17:18], |v[10:11]|, s[8:9]
	s_mov_b32 s8, 0xf3dde3dd
	s_mov_b32 s9, 0x3f859961
	v_fma_f64 v[12:13], v[8:9], v[15:16], -v[12:13]
	v_rndne_f64_e32 v[17:18], v[17:18]
	v_add_f64 v[12:13], v[12:13], s[8:9]
	s_mov_b32 s8, 0xfefa39ef
	s_mov_b32 s9, 0xbfe62e42
	v_fma_f64 v[10:11], v[17:18], s[8:9], |v[10:11]|
	s_mov_b32 s8, 0xf121b6f0
	s_mov_b32 s9, 0xbf984e9e
	v_fma_f64 v[15:16], v[8:9], v[12:13], -v[15:16]
	v_fma_f64 v[10:11], v[17:18], s[10:11], v[10:11]
	s_mov_b32 s10, 0x623fde64
	s_mov_b32 s11, 0x3ec71dee
	v_add_f64 v[15:16], v[15:16], s[8:9]
	s_mov_b32 s8, 0x6a5dcb37
	s_mov_b32 s9, 0x3e5ade15
	v_fma_f64 v[19:20], v[10:11], s[8:9], v[19:20]
	s_mov_b32 s8, 0xcea8a32d
	s_mov_b32 s9, 0x3fa93e8a
	v_fma_f64 v[12:13], v[8:9], v[15:16], -v[12:13]
	v_fma_f64 v[19:20], v[10:11], v[19:20], s[10:11]
	s_mov_b32 s10, 0x14761f6e
	s_mov_b32 s11, 0x3f2a01a0
	v_add_f64 v[12:13], v[12:13], s[8:9]
	s_mov_b32 s8, 0x7c89e6b0
	s_mov_b32 s9, 0x3efa0199
	v_fma_f64 v[19:20], v[10:11], v[19:20], s[8:9]
	;; [unrolled: 10-line block ×4, first 2 shown]
	s_mov_b32 s8, 0xc057cd8d
	s_mov_b32 s9, 0xbfd37feb
	v_fma_f64 v[15:16], v[8:9], v[12:13], -v[15:16]
	v_fma_f64 v[19:20], v[10:11], v[19:20], s[10:11]
	v_add_f64 v[15:16], v[15:16], s[8:9]
	s_mov_b32 s8, 11
	s_mov_b32 s9, 0x3fe00000
	v_fma_f64 v[19:20], v[10:11], v[19:20], s[8:9]
	s_mov_b32 s8, 0x9035a22a
	s_mov_b32 s9, 0x3fe5a84e
	v_fma_f64 v[8:9], v[8:9], v[15:16], -v[12:13]
	v_fma_f64 v[15:16], v[10:11], v[19:20], 1.0
	v_add_f64 v[8:9], v[8:9], s[8:9]
	v_fma_f64 v[10:11], v[10:11], v[15:16], 1.0
	v_add_f64 v[8:9], v[8:9], -v[12:13]
	v_cvt_i32_f64_e32 v12, v[17:18]
	v_ldexp_f64 v[10:11], v[10:11], v12
	v_mul_f64 v[8:9], v[8:9], 0.5
	v_mul_f64 v[8:9], v[10:11], v[8:9]
                                        ; implicit-def: $vgpr10_vgpr11
.LBB1_6:
	s_andn2_saveexec_b64 s[6:7], s[6:7]
	s_cbranch_execz .LBB1_8
; %bb.7:
	s_mov_b32 s8, 0
	v_and_b32_e32 v9, 0x7fffffff, v11
	v_mov_b32_e32 v8, v10
	s_mov_b32 s9, 0x40400000
	v_div_scale_f64 v[12:13], s[10:11], v[8:9], v[8:9], s[8:9]
	v_div_scale_f64 v[8:9], vcc, s[8:9], v[8:9], s[8:9]
	v_mov_b32_e32 v19, 0xfca7ab0c
	v_mov_b32_e32 v20, 0x3e928af3
	v_rcp_f64_e32 v[15:16], v[12:13]
	v_fma_f64 v[17:18], -v[12:13], v[15:16], 1.0
	v_fma_f64 v[15:16], v[15:16], v[17:18], v[15:16]
	v_fma_f64 v[17:18], -v[12:13], v[15:16], 1.0
	v_fma_f64 v[15:16], v[15:16], v[17:18], v[15:16]
	v_mul_f64 v[17:18], v[8:9], v[15:16]
	v_fma_f64 v[8:9], -v[12:13], v[17:18], v[8:9]
	v_mov_b32_e32 v12, 0x66119130
	v_mov_b32_e32 v13, 0xbc5646da
	v_div_fmas_f64 v[8:9], v[8:9], v[15:16], v[17:18]
	v_div_fixup_f64 v[8:9], v[8:9], |v[10:11]|, s[8:9]
	s_mov_b32 s9, 0xbc60adb7
	s_mov_b32 s8, 0x54ca8b19
	v_add_f64 v[8:9], v[8:9], -2.0
	v_fma_f64 v[12:13], v[8:9], s[8:9], v[12:13]
	s_mov_b32 s9, 0x3c60adb7
	v_fma_f64 v[15:16], v[8:9], v[12:13], s[8:9]
	s_mov_b32 s8, 0x12d98421
	s_mov_b32 s9, 0x3c89be18
	v_add_f64 v[15:16], v[15:16], s[8:9]
	s_mov_b32 s8, 0x76041cd
	s_mov_b32 s9, 0x3c83f3dd
	v_fma_f64 v[12:13], v[8:9], v[15:16], -v[12:13]
	v_add_f64 v[12:13], v[12:13], s[8:9]
	s_mov_b32 s8, 0xabd21fe4
	s_mov_b32 s9, 0xbcb4600b
	v_fma_f64 v[15:16], v[8:9], v[12:13], -v[15:16]
	;; [unrolled: 4-line block ×22, first 2 shown]
	v_add_f64 v[8:9], v[8:9], s[8:9]
	s_mov_b32 s8, 0x652b82fe
	s_mov_b32 s9, 0x3ff71547
	v_mul_f64 v[12:13], |v[10:11]|, s[8:9]
	s_mov_b32 s8, 0xfefa39ef
	s_mov_b32 s9, 0xbfe62e42
	v_add_f64 v[8:9], v[8:9], -v[15:16]
	v_rndne_f64_e32 v[12:13], v[12:13]
	v_mul_f64 v[8:9], v[8:9], 0.5
	v_fma_f64 v[17:18], v[12:13], s[8:9], |v[10:11]|
	s_mov_b32 s8, 0x3b39803f
	s_mov_b32 s9, 0xbc7abc9e
	v_fma_f64 v[17:18], v[12:13], s[8:9], v[17:18]
	s_mov_b32 s8, 0x6a5dcb37
	s_mov_b32 s9, 0x3e5ade15
	v_cvt_i32_f64_e32 v12, v[12:13]
	v_fma_f64 v[19:20], v[17:18], s[8:9], v[19:20]
	s_mov_b32 s8, 0x623fde64
	s_mov_b32 s9, 0x3ec71dee
	v_fma_f64 v[19:20], v[17:18], v[19:20], s[8:9]
	s_mov_b32 s8, 0x7c89e6b0
	s_mov_b32 s9, 0x3efa0199
	;; [unrolled: 3-line block ×9, first 2 shown]
	v_cmp_ngt_f64_e64 vcc, |v[10:11]|, s[8:9]
	s_mov_b32 s8, 0
	s_brev_b32 s9, 8
	v_fma_f64 v[19:20], v[17:18], v[19:20], 1.0
	v_fma_f64 v[17:18], v[17:18], v[19:20], 1.0
	v_ldexp_f64 v[12:13], v[17:18], v12
	v_mov_b32_e32 v17, 0x7ff00000
	v_cndmask_b32_e32 v13, v17, v13, vcc
	v_cndmask_b32_e32 v12, 0, v12, vcc
	v_cmp_lt_f64_e64 vcc, |v[10:11]|, s[8:9]
	v_mul_f64 v[8:9], v[12:13], v[8:9]
	v_mov_b32_e32 v12, 0x100
	v_cndmask_b32_e32 v12, 0, v12, vcc
	v_ldexp_f64 v[10:11], |v[10:11]|, v12
	v_rsq_f64_e32 v[12:13], v[10:11]
	v_mul_f64 v[15:16], v[10:11], v[12:13]
	v_mul_f64 v[12:13], v[12:13], 0.5
	v_fma_f64 v[17:18], -v[12:13], v[15:16], 0.5
	v_fma_f64 v[15:16], v[15:16], v[17:18], v[15:16]
	v_fma_f64 v[12:13], v[12:13], v[17:18], v[12:13]
	v_fma_f64 v[19:20], -v[15:16], v[15:16], v[10:11]
	v_fma_f64 v[15:16], v[19:20], v[12:13], v[15:16]
	v_fma_f64 v[17:18], -v[15:16], v[15:16], v[10:11]
	v_fma_f64 v[12:13], v[17:18], v[12:13], v[15:16]
	v_mov_b32_e32 v15, 0xffffff80
	v_cndmask_b32_e32 v15, 0, v15, vcc
	v_ldexp_f64 v[12:13], v[12:13], v15
	v_mov_b32_e32 v15, 0x260
	v_cmp_class_f64_e32 vcc, v[10:11], v15
	v_cndmask_b32_e32 v11, v13, v11, vcc
	v_cndmask_b32_e32 v10, v12, v10, vcc
	v_div_scale_f64 v[12:13], s[8:9], v[10:11], v[10:11], v[8:9]
	v_rcp_f64_e32 v[15:16], v[12:13]
	v_fma_f64 v[17:18], -v[12:13], v[15:16], 1.0
	v_fma_f64 v[15:16], v[15:16], v[17:18], v[15:16]
	v_fma_f64 v[17:18], -v[12:13], v[15:16], 1.0
	v_fma_f64 v[15:16], v[15:16], v[17:18], v[15:16]
	v_div_scale_f64 v[17:18], vcc, v[8:9], v[10:11], v[8:9]
	v_mul_f64 v[19:20], v[17:18], v[15:16]
	v_fma_f64 v[12:13], -v[12:13], v[19:20], v[17:18]
	s_nop 1
	v_div_fmas_f64 v[12:13], v[12:13], v[15:16], v[19:20]
	v_div_fixup_f64 v[8:9], v[12:13], v[10:11], v[8:9]
.LBB1_8:
	s_or_b64 exec, exec, s[6:7]
	s_mov_b32 s6, 0
	s_mov_b32 s7, 0x40200000
	v_cmp_le_f64_e64 s[6:7], |v[2:3]|, s[6:7]
                                        ; implicit-def: $vgpr10_vgpr11
	s_and_saveexec_b64 s[8:9], s[6:7]
	s_xor_b64 s[6:7], exec, s[8:9]
	s_cbranch_execz .LBB1_10
; %bb.9:
	v_fma_f64 v[10:11], |v[2:3]|, 0.5, -2.0
	v_mov_b32_e32 v12, 0x977da589
	v_mov_b32_e32 v13, 0x3c833362
	s_mov_b32 s9, 0xbc545cb7
	s_mov_b32 s8, 0x2134d0ef
	;; [unrolled: 1-line block ×4, first 2 shown]
	v_mov_b32_e32 v21, 0xfca7ab0c
	v_fma_f64 v[12:13], v[10:11], s[8:9], v[12:13]
	s_mov_b32 s9, 0x3c545cb7
	v_mov_b32_e32 v22, 0x3e928af3
	v_fma_f64 v[15:16], v[10:11], v[12:13], s[8:9]
	s_mov_b32 s8, 0x721ebbb4
	s_mov_b32 s9, 0xbcb184eb
	v_add_f64 v[15:16], v[15:16], s[8:9]
	s_mov_b32 s8, 0x93f65eba
	s_mov_b32 s9, 0x3cdee6d8
	v_fma_f64 v[12:13], v[10:11], v[15:16], -v[12:13]
	v_add_f64 v[12:13], v[12:13], s[8:9]
	s_mov_b32 s8, 0xc297fbeb
	s_mov_b32 s9, 0xbd0a5022
	v_fma_f64 v[15:16], v[10:11], v[12:13], -v[15:16]
	;; [unrolled: 4-line block ×20, first 2 shown]
	v_add_f64 v[15:16], v[15:16], s[8:9]
	s_mov_b32 s8, 0x652b82fe
	s_mov_b32 s9, 0x3ff71547
	v_mul_f64 v[17:18], |v[2:3]|, s[8:9]
	s_mov_b32 s8, 0xf3dde3dd
	s_mov_b32 s9, 0x3f859961
	v_fma_f64 v[12:13], v[10:11], v[15:16], -v[12:13]
	v_rndne_f64_e32 v[17:18], v[17:18]
	v_add_f64 v[12:13], v[12:13], s[8:9]
	s_mov_b32 s8, 0xfefa39ef
	s_mov_b32 s9, 0xbfe62e42
	v_fma_f64 v[19:20], v[17:18], s[8:9], |v[2:3]|
	s_mov_b32 s8, 0xf121b6f0
	s_mov_b32 s9, 0xbf984e9e
	v_fma_f64 v[15:16], v[10:11], v[12:13], -v[15:16]
	v_fma_f64 v[19:20], v[17:18], s[10:11], v[19:20]
	s_mov_b32 s10, 0x623fde64
	s_mov_b32 s11, 0x3ec71dee
	v_add_f64 v[15:16], v[15:16], s[8:9]
	s_mov_b32 s8, 0x6a5dcb37
	s_mov_b32 s9, 0x3e5ade15
	v_fma_f64 v[21:22], v[19:20], s[8:9], v[21:22]
	s_mov_b32 s8, 0xcea8a32d
	s_mov_b32 s9, 0x3fa93e8a
	v_fma_f64 v[12:13], v[10:11], v[15:16], -v[12:13]
	v_fma_f64 v[21:22], v[19:20], v[21:22], s[10:11]
	s_mov_b32 s10, 0x14761f6e
	s_mov_b32 s11, 0x3f2a01a0
	v_add_f64 v[12:13], v[12:13], s[8:9]
	s_mov_b32 s8, 0x7c89e6b0
	s_mov_b32 s9, 0x3efa0199
	v_fma_f64 v[21:22], v[19:20], v[21:22], s[8:9]
	;; [unrolled: 10-line block ×4, first 2 shown]
	s_mov_b32 s8, 0xc057cd8d
	s_mov_b32 s9, 0xbfd37feb
	v_fma_f64 v[15:16], v[10:11], v[12:13], -v[15:16]
	v_fma_f64 v[21:22], v[19:20], v[21:22], s[10:11]
	v_add_f64 v[15:16], v[15:16], s[8:9]
	s_mov_b32 s8, 11
	s_mov_b32 s9, 0x3fe00000
	v_fma_f64 v[21:22], v[19:20], v[21:22], s[8:9]
	s_mov_b32 s8, 0x9035a22a
	s_mov_b32 s9, 0x3fe5a84e
	v_fma_f64 v[10:11], v[10:11], v[15:16], -v[12:13]
	v_fma_f64 v[15:16], v[19:20], v[21:22], 1.0
	v_add_f64 v[10:11], v[10:11], s[8:9]
	v_fma_f64 v[15:16], v[19:20], v[15:16], 1.0
	v_add_f64 v[10:11], v[10:11], -v[12:13]
	v_cvt_i32_f64_e32 v12, v[17:18]
	v_ldexp_f64 v[12:13], v[15:16], v12
	v_mul_f64 v[10:11], v[10:11], 0.5
	v_mul_f64 v[10:11], v[12:13], v[10:11]
.LBB1_10:
	s_andn2_saveexec_b64 s[6:7], s[6:7]
	s_cbranch_execz .LBB1_12
; %bb.11:
	s_mov_b32 s8, 0
	v_and_b32_e32 v11, 0x7fffffff, v3
	v_mov_b32_e32 v10, v2
	s_mov_b32 s9, 0x40400000
	v_div_scale_f64 v[12:13], s[10:11], v[10:11], v[10:11], s[8:9]
	v_div_scale_f64 v[10:11], vcc, s[8:9], v[10:11], s[8:9]
	v_mov_b32_e32 v19, 0xfca7ab0c
	v_mov_b32_e32 v20, 0x3e928af3
	v_rcp_f64_e32 v[15:16], v[12:13]
	v_fma_f64 v[17:18], -v[12:13], v[15:16], 1.0
	v_fma_f64 v[15:16], v[15:16], v[17:18], v[15:16]
	v_fma_f64 v[17:18], -v[12:13], v[15:16], 1.0
	v_fma_f64 v[15:16], v[15:16], v[17:18], v[15:16]
	v_mul_f64 v[17:18], v[10:11], v[15:16]
	v_fma_f64 v[10:11], -v[12:13], v[17:18], v[10:11]
	v_mov_b32_e32 v12, 0x66119130
	v_mov_b32_e32 v13, 0xbc5646da
	v_div_fmas_f64 v[10:11], v[10:11], v[15:16], v[17:18]
	v_div_fixup_f64 v[10:11], v[10:11], |v[2:3]|, s[8:9]
	s_mov_b32 s9, 0xbc60adb7
	s_mov_b32 s8, 0x54ca8b19
	v_add_f64 v[10:11], v[10:11], -2.0
	v_fma_f64 v[12:13], v[10:11], s[8:9], v[12:13]
	s_mov_b32 s9, 0x3c60adb7
	v_fma_f64 v[15:16], v[10:11], v[12:13], s[8:9]
	s_mov_b32 s8, 0x12d98421
	s_mov_b32 s9, 0x3c89be18
	v_add_f64 v[15:16], v[15:16], s[8:9]
	s_mov_b32 s8, 0x76041cd
	s_mov_b32 s9, 0x3c83f3dd
	v_fma_f64 v[12:13], v[10:11], v[15:16], -v[12:13]
	v_add_f64 v[12:13], v[12:13], s[8:9]
	s_mov_b32 s8, 0xabd21fe4
	s_mov_b32 s9, 0xbcb4600b
	v_fma_f64 v[15:16], v[10:11], v[12:13], -v[15:16]
	;; [unrolled: 4-line block ×22, first 2 shown]
	v_add_f64 v[10:11], v[10:11], s[8:9]
	s_mov_b32 s8, 0x652b82fe
	s_mov_b32 s9, 0x3ff71547
	v_mul_f64 v[12:13], |v[2:3]|, s[8:9]
	s_mov_b32 s8, 0xfefa39ef
	s_mov_b32 s9, 0xbfe62e42
	v_add_f64 v[10:11], v[10:11], -v[15:16]
	v_rndne_f64_e32 v[12:13], v[12:13]
	v_mul_f64 v[10:11], v[10:11], 0.5
	v_fma_f64 v[17:18], v[12:13], s[8:9], |v[2:3]|
	s_mov_b32 s8, 0x3b39803f
	s_mov_b32 s9, 0xbc7abc9e
	v_fma_f64 v[17:18], v[12:13], s[8:9], v[17:18]
	s_mov_b32 s8, 0x6a5dcb37
	s_mov_b32 s9, 0x3e5ade15
	v_cvt_i32_f64_e32 v12, v[12:13]
	v_fma_f64 v[19:20], v[17:18], s[8:9], v[19:20]
	s_mov_b32 s8, 0x623fde64
	s_mov_b32 s9, 0x3ec71dee
	v_fma_f64 v[19:20], v[17:18], v[19:20], s[8:9]
	s_mov_b32 s8, 0x7c89e6b0
	s_mov_b32 s9, 0x3efa0199
	;; [unrolled: 3-line block ×9, first 2 shown]
	v_cmp_ngt_f64_e64 vcc, |v[2:3]|, s[8:9]
	s_mov_b32 s8, 0
	s_brev_b32 s9, 8
	v_fma_f64 v[19:20], v[17:18], v[19:20], 1.0
	v_fma_f64 v[17:18], v[17:18], v[19:20], 1.0
	v_ldexp_f64 v[12:13], v[17:18], v12
	v_mov_b32_e32 v17, 0x7ff00000
	v_cndmask_b32_e32 v13, v17, v13, vcc
	v_cndmask_b32_e32 v12, 0, v12, vcc
	v_cmp_lt_f64_e64 vcc, |v[2:3]|, s[8:9]
	v_mul_f64 v[10:11], v[12:13], v[10:11]
	v_mov_b32_e32 v12, 0x100
	v_cndmask_b32_e32 v12, 0, v12, vcc
	v_ldexp_f64 v[2:3], |v[2:3]|, v12
	v_rsq_f64_e32 v[12:13], v[2:3]
	v_mul_f64 v[15:16], v[2:3], v[12:13]
	v_mul_f64 v[12:13], v[12:13], 0.5
	v_fma_f64 v[17:18], -v[12:13], v[15:16], 0.5
	v_fma_f64 v[15:16], v[15:16], v[17:18], v[15:16]
	v_fma_f64 v[12:13], v[12:13], v[17:18], v[12:13]
	v_fma_f64 v[19:20], -v[15:16], v[15:16], v[2:3]
	v_fma_f64 v[15:16], v[19:20], v[12:13], v[15:16]
	v_fma_f64 v[17:18], -v[15:16], v[15:16], v[2:3]
	v_fma_f64 v[12:13], v[17:18], v[12:13], v[15:16]
	v_mov_b32_e32 v15, 0xffffff80
	v_cndmask_b32_e32 v15, 0, v15, vcc
	v_ldexp_f64 v[12:13], v[12:13], v15
	v_mov_b32_e32 v15, 0x260
	v_cmp_class_f64_e32 vcc, v[2:3], v15
	v_cndmask_b32_e32 v3, v13, v3, vcc
	v_cndmask_b32_e32 v2, v12, v2, vcc
	v_div_scale_f64 v[12:13], s[8:9], v[2:3], v[2:3], v[10:11]
	v_rcp_f64_e32 v[15:16], v[12:13]
	v_fma_f64 v[17:18], -v[12:13], v[15:16], 1.0
	v_fma_f64 v[15:16], v[15:16], v[17:18], v[15:16]
	v_fma_f64 v[17:18], -v[12:13], v[15:16], 1.0
	v_fma_f64 v[15:16], v[15:16], v[17:18], v[15:16]
	v_div_scale_f64 v[17:18], vcc, v[10:11], v[2:3], v[10:11]
	v_mul_f64 v[19:20], v[17:18], v[15:16]
	v_fma_f64 v[12:13], -v[12:13], v[19:20], v[17:18]
	s_nop 1
	v_div_fmas_f64 v[12:13], v[12:13], v[15:16], v[19:20]
	v_div_fixup_f64 v[10:11], v[12:13], v[2:3], v[10:11]
.LBB1_12:
	s_or_b64 exec, exec, s[6:7]
	s_mov_b32 s6, 0
	s_mov_b32 s7, 0x40200000
	v_cmp_le_f64_e64 s[6:7], |v[4:5]|, s[6:7]
	s_and_saveexec_b64 s[8:9], s[6:7]
	s_xor_b64 s[6:7], exec, s[8:9]
	s_cbranch_execz .LBB1_14
; %bb.13:
	v_fma_f64 v[2:3], |v[4:5]|, 0.5, -2.0
	v_mov_b32_e32 v12, 0x977da589
	v_mov_b32_e32 v13, 0x3c833362
	s_mov_b32 s9, 0xbc545cb7
	s_mov_b32 s8, 0x2134d0ef
	;; [unrolled: 1-line block ×4, first 2 shown]
	v_mov_b32_e32 v19, 0xfca7ab0c
	v_fma_f64 v[12:13], v[2:3], s[8:9], v[12:13]
	s_mov_b32 s9, 0x3c545cb7
	v_mov_b32_e32 v20, 0x3e928af3
	v_fma_f64 v[15:16], v[2:3], v[12:13], s[8:9]
	s_mov_b32 s8, 0x721ebbb4
	s_mov_b32 s9, 0xbcb184eb
	v_add_f64 v[15:16], v[15:16], s[8:9]
	s_mov_b32 s8, 0x93f65eba
	s_mov_b32 s9, 0x3cdee6d8
	v_fma_f64 v[12:13], v[2:3], v[15:16], -v[12:13]
	v_add_f64 v[12:13], v[12:13], s[8:9]
	s_mov_b32 s8, 0xc297fbeb
	s_mov_b32 s9, 0xbd0a5022
	v_fma_f64 v[15:16], v[2:3], v[12:13], -v[15:16]
	;; [unrolled: 4-line block ×20, first 2 shown]
	v_add_f64 v[15:16], v[15:16], s[8:9]
	s_mov_b32 s8, 0x652b82fe
	s_mov_b32 s9, 0x3ff71547
	v_mul_f64 v[17:18], |v[4:5]|, s[8:9]
	s_mov_b32 s8, 0xf3dde3dd
	s_mov_b32 s9, 0x3f859961
	v_fma_f64 v[12:13], v[2:3], v[15:16], -v[12:13]
	v_rndne_f64_e32 v[17:18], v[17:18]
	v_add_f64 v[12:13], v[12:13], s[8:9]
	s_mov_b32 s8, 0xfefa39ef
	s_mov_b32 s9, 0xbfe62e42
	v_fma_f64 v[4:5], v[17:18], s[8:9], |v[4:5]|
	s_mov_b32 s8, 0xf121b6f0
	s_mov_b32 s9, 0xbf984e9e
	v_fma_f64 v[15:16], v[2:3], v[12:13], -v[15:16]
	v_fma_f64 v[4:5], v[17:18], s[10:11], v[4:5]
	s_mov_b32 s10, 0x623fde64
	s_mov_b32 s11, 0x3ec71dee
	v_add_f64 v[15:16], v[15:16], s[8:9]
	s_mov_b32 s8, 0x6a5dcb37
	s_mov_b32 s9, 0x3e5ade15
	v_fma_f64 v[19:20], v[4:5], s[8:9], v[19:20]
	s_mov_b32 s8, 0xcea8a32d
	s_mov_b32 s9, 0x3fa93e8a
	v_fma_f64 v[12:13], v[2:3], v[15:16], -v[12:13]
	v_fma_f64 v[19:20], v[4:5], v[19:20], s[10:11]
	s_mov_b32 s10, 0x14761f6e
	s_mov_b32 s11, 0x3f2a01a0
	v_add_f64 v[12:13], v[12:13], s[8:9]
	s_mov_b32 s8, 0x7c89e6b0
	s_mov_b32 s9, 0x3efa0199
	v_fma_f64 v[19:20], v[4:5], v[19:20], s[8:9]
	;; [unrolled: 10-line block ×4, first 2 shown]
	s_mov_b32 s8, 0xc057cd8d
	s_mov_b32 s9, 0xbfd37feb
	v_fma_f64 v[15:16], v[2:3], v[12:13], -v[15:16]
	v_fma_f64 v[19:20], v[4:5], v[19:20], s[10:11]
	v_add_f64 v[15:16], v[15:16], s[8:9]
	s_mov_b32 s8, 11
	s_mov_b32 s9, 0x3fe00000
	v_fma_f64 v[19:20], v[4:5], v[19:20], s[8:9]
	s_mov_b32 s8, 0x9035a22a
	s_mov_b32 s9, 0x3fe5a84e
	v_fma_f64 v[2:3], v[2:3], v[15:16], -v[12:13]
	v_fma_f64 v[15:16], v[4:5], v[19:20], 1.0
	v_add_f64 v[2:3], v[2:3], s[8:9]
	v_fma_f64 v[4:5], v[4:5], v[15:16], 1.0
	v_add_f64 v[2:3], v[2:3], -v[12:13]
	v_cvt_i32_f64_e32 v12, v[17:18]
	v_ldexp_f64 v[4:5], v[4:5], v12
	v_mul_f64 v[2:3], v[2:3], 0.5
	v_mul_f64 v[12:13], v[4:5], v[2:3]
                                        ; implicit-def: $vgpr4_vgpr5
.LBB1_14:
	s_andn2_saveexec_b64 s[6:7], s[6:7]
	s_cbranch_execz .LBB1_16
; %bb.15:
	s_mov_b32 s8, 0
	v_and_b32_e32 v3, 0x7fffffff, v5
	v_mov_b32_e32 v2, v4
	s_mov_b32 s9, 0x40400000
	v_div_scale_f64 v[12:13], s[10:11], v[2:3], v[2:3], s[8:9]
	v_div_scale_f64 v[2:3], vcc, s[8:9], v[2:3], s[8:9]
	v_mov_b32_e32 v19, 0xfca7ab0c
	v_mov_b32_e32 v20, 0x3e928af3
	v_rcp_f64_e32 v[15:16], v[12:13]
	v_fma_f64 v[17:18], -v[12:13], v[15:16], 1.0
	v_fma_f64 v[15:16], v[15:16], v[17:18], v[15:16]
	v_fma_f64 v[17:18], -v[12:13], v[15:16], 1.0
	v_fma_f64 v[15:16], v[15:16], v[17:18], v[15:16]
	v_mul_f64 v[17:18], v[2:3], v[15:16]
	v_fma_f64 v[2:3], -v[12:13], v[17:18], v[2:3]
	v_mov_b32_e32 v12, 0x66119130
	v_mov_b32_e32 v13, 0xbc5646da
	v_div_fmas_f64 v[2:3], v[2:3], v[15:16], v[17:18]
	v_div_fixup_f64 v[2:3], v[2:3], |v[4:5]|, s[8:9]
	s_mov_b32 s9, 0xbc60adb7
	s_mov_b32 s8, 0x54ca8b19
	v_add_f64 v[2:3], v[2:3], -2.0
	v_fma_f64 v[12:13], v[2:3], s[8:9], v[12:13]
	s_mov_b32 s9, 0x3c60adb7
	v_fma_f64 v[15:16], v[2:3], v[12:13], s[8:9]
	s_mov_b32 s8, 0x12d98421
	s_mov_b32 s9, 0x3c89be18
	v_add_f64 v[15:16], v[15:16], s[8:9]
	s_mov_b32 s8, 0x76041cd
	s_mov_b32 s9, 0x3c83f3dd
	v_fma_f64 v[12:13], v[2:3], v[15:16], -v[12:13]
	v_add_f64 v[12:13], v[12:13], s[8:9]
	s_mov_b32 s8, 0xabd21fe4
	s_mov_b32 s9, 0xbcb4600b
	v_fma_f64 v[15:16], v[2:3], v[12:13], -v[15:16]
	;; [unrolled: 4-line block ×22, first 2 shown]
	v_add_f64 v[2:3], v[2:3], s[8:9]
	s_mov_b32 s8, 0x652b82fe
	s_mov_b32 s9, 0x3ff71547
	v_mul_f64 v[12:13], |v[4:5]|, s[8:9]
	s_mov_b32 s8, 0xfefa39ef
	s_mov_b32 s9, 0xbfe62e42
	v_add_f64 v[2:3], v[2:3], -v[15:16]
	v_rndne_f64_e32 v[12:13], v[12:13]
	v_mul_f64 v[2:3], v[2:3], 0.5
	v_fma_f64 v[17:18], v[12:13], s[8:9], |v[4:5]|
	s_mov_b32 s8, 0x3b39803f
	s_mov_b32 s9, 0xbc7abc9e
	v_fma_f64 v[17:18], v[12:13], s[8:9], v[17:18]
	s_mov_b32 s8, 0x6a5dcb37
	s_mov_b32 s9, 0x3e5ade15
	v_cvt_i32_f64_e32 v12, v[12:13]
	v_fma_f64 v[19:20], v[17:18], s[8:9], v[19:20]
	s_mov_b32 s8, 0x623fde64
	s_mov_b32 s9, 0x3ec71dee
	v_fma_f64 v[19:20], v[17:18], v[19:20], s[8:9]
	s_mov_b32 s8, 0x7c89e6b0
	s_mov_b32 s9, 0x3efa0199
	;; [unrolled: 3-line block ×9, first 2 shown]
	v_cmp_ngt_f64_e64 vcc, |v[4:5]|, s[8:9]
	s_mov_b32 s8, 0
	s_brev_b32 s9, 8
	v_fma_f64 v[19:20], v[17:18], v[19:20], 1.0
	v_fma_f64 v[17:18], v[17:18], v[19:20], 1.0
	v_ldexp_f64 v[12:13], v[17:18], v12
	v_mov_b32_e32 v17, 0x7ff00000
	v_cndmask_b32_e32 v13, v17, v13, vcc
	v_cndmask_b32_e32 v12, 0, v12, vcc
	v_cmp_lt_f64_e64 vcc, |v[4:5]|, s[8:9]
	v_mul_f64 v[2:3], v[12:13], v[2:3]
	v_mov_b32_e32 v12, 0x100
	v_cndmask_b32_e32 v12, 0, v12, vcc
	v_ldexp_f64 v[4:5], |v[4:5]|, v12
	v_rsq_f64_e32 v[12:13], v[4:5]
	v_mul_f64 v[15:16], v[4:5], v[12:13]
	v_mul_f64 v[12:13], v[12:13], 0.5
	v_fma_f64 v[17:18], -v[12:13], v[15:16], 0.5
	v_fma_f64 v[15:16], v[15:16], v[17:18], v[15:16]
	v_fma_f64 v[12:13], v[12:13], v[17:18], v[12:13]
	v_fma_f64 v[19:20], -v[15:16], v[15:16], v[4:5]
	v_fma_f64 v[15:16], v[19:20], v[12:13], v[15:16]
	v_fma_f64 v[17:18], -v[15:16], v[15:16], v[4:5]
	v_fma_f64 v[12:13], v[17:18], v[12:13], v[15:16]
	v_mov_b32_e32 v15, 0xffffff80
	v_cndmask_b32_e32 v15, 0, v15, vcc
	v_ldexp_f64 v[12:13], v[12:13], v15
	v_mov_b32_e32 v15, 0x260
	v_cmp_class_f64_e32 vcc, v[4:5], v15
	v_cndmask_b32_e32 v5, v13, v5, vcc
	v_cndmask_b32_e32 v4, v12, v4, vcc
	v_div_scale_f64 v[12:13], s[8:9], v[4:5], v[4:5], v[2:3]
	v_rcp_f64_e32 v[15:16], v[12:13]
	v_fma_f64 v[17:18], -v[12:13], v[15:16], 1.0
	v_fma_f64 v[15:16], v[15:16], v[17:18], v[15:16]
	v_fma_f64 v[17:18], -v[12:13], v[15:16], 1.0
	v_fma_f64 v[15:16], v[15:16], v[17:18], v[15:16]
	v_div_scale_f64 v[17:18], vcc, v[2:3], v[4:5], v[2:3]
	v_mul_f64 v[19:20], v[17:18], v[15:16]
	v_fma_f64 v[12:13], -v[12:13], v[19:20], v[17:18]
	s_nop 1
	v_div_fmas_f64 v[12:13], v[12:13], v[15:16], v[19:20]
	v_div_fixup_f64 v[12:13], v[12:13], v[4:5], v[2:3]
.LBB1_16:
	s_or_b64 exec, exec, s[6:7]
	v_mov_b32_e32 v2, s5
	v_add_co_u32_e32 v0, vcc, s4, v0
	v_addc_co_u32_e32 v1, vcc, v1, v2, vcc
	v_add_co_u32_e32 v0, vcc, v0, v14
	v_addc_co_u32_e32 v1, vcc, 0, v1, vcc
	flat_store_dwordx4 v[0:1], v[6:9]
	flat_store_dwordx4 v[0:1], v[10:13] offset:16
	s_waitcnt vmcnt(0) lgkmcnt(0)
	s_setpc_b64 s[30:31]
.Lfunc_end1:
	.size	_ZN2at6native25elementwise_kernel_helperILb0EZZZNS0_12_GLOBAL__N_130modified_bessel_i0_kernel_cudaERNS_18TensorIteratorBaseEENKUlvE_clEvENKUlvE_clEvEUldE_NS0_6memory8policies10vectorizedILi4ESt5arrayIPcLm2EELi4EEEEEvT0_T1_, .Lfunc_end1-_ZN2at6native25elementwise_kernel_helperILb0EZZZNS0_12_GLOBAL__N_130modified_bessel_i0_kernel_cudaERNS_18TensorIteratorBaseEENKUlvE_clEvENKUlvE_clEvEUldE_NS0_6memory8policies10vectorizedILi4ESt5arrayIPcLm2EELi4EEEEEvT0_T1_
                                        ; -- End function
	.set .L_ZN2at6native25elementwise_kernel_helperILb0EZZZNS0_12_GLOBAL__N_130modified_bessel_i0_kernel_cudaERNS_18TensorIteratorBaseEENKUlvE_clEvENKUlvE_clEvEUldE_NS0_6memory8policies10vectorizedILi4ESt5arrayIPcLm2EELi4EEEEEvT0_T1_.num_vgpr, 32
	.set .L_ZN2at6native25elementwise_kernel_helperILb0EZZZNS0_12_GLOBAL__N_130modified_bessel_i0_kernel_cudaERNS_18TensorIteratorBaseEENKUlvE_clEvENKUlvE_clEvEUldE_NS0_6memory8policies10vectorizedILi4ESt5arrayIPcLm2EELi4EEEEEvT0_T1_.num_agpr, 0
	.set .L_ZN2at6native25elementwise_kernel_helperILb0EZZZNS0_12_GLOBAL__N_130modified_bessel_i0_kernel_cudaERNS_18TensorIteratorBaseEENKUlvE_clEvENKUlvE_clEvEUldE_NS0_6memory8policies10vectorizedILi4ESt5arrayIPcLm2EELi4EEEEEvT0_T1_.numbered_sgpr, 32
	.set .L_ZN2at6native25elementwise_kernel_helperILb0EZZZNS0_12_GLOBAL__N_130modified_bessel_i0_kernel_cudaERNS_18TensorIteratorBaseEENKUlvE_clEvENKUlvE_clEvEUldE_NS0_6memory8policies10vectorizedILi4ESt5arrayIPcLm2EELi4EEEEEvT0_T1_.num_named_barrier, 0
	.set .L_ZN2at6native25elementwise_kernel_helperILb0EZZZNS0_12_GLOBAL__N_130modified_bessel_i0_kernel_cudaERNS_18TensorIteratorBaseEENKUlvE_clEvENKUlvE_clEvEUldE_NS0_6memory8policies10vectorizedILi4ESt5arrayIPcLm2EELi4EEEEEvT0_T1_.private_seg_size, 0
	.set .L_ZN2at6native25elementwise_kernel_helperILb0EZZZNS0_12_GLOBAL__N_130modified_bessel_i0_kernel_cudaERNS_18TensorIteratorBaseEENKUlvE_clEvENKUlvE_clEvEUldE_NS0_6memory8policies10vectorizedILi4ESt5arrayIPcLm2EELi4EEEEEvT0_T1_.uses_vcc, 1
	.set .L_ZN2at6native25elementwise_kernel_helperILb0EZZZNS0_12_GLOBAL__N_130modified_bessel_i0_kernel_cudaERNS_18TensorIteratorBaseEENKUlvE_clEvENKUlvE_clEvEUldE_NS0_6memory8policies10vectorizedILi4ESt5arrayIPcLm2EELi4EEEEEvT0_T1_.uses_flat_scratch, 0
	.set .L_ZN2at6native25elementwise_kernel_helperILb0EZZZNS0_12_GLOBAL__N_130modified_bessel_i0_kernel_cudaERNS_18TensorIteratorBaseEENKUlvE_clEvENKUlvE_clEvEUldE_NS0_6memory8policies10vectorizedILi4ESt5arrayIPcLm2EELi4EEEEEvT0_T1_.has_dyn_sized_stack, 0
	.set .L_ZN2at6native25elementwise_kernel_helperILb0EZZZNS0_12_GLOBAL__N_130modified_bessel_i0_kernel_cudaERNS_18TensorIteratorBaseEENKUlvE_clEvENKUlvE_clEvEUldE_NS0_6memory8policies10vectorizedILi4ESt5arrayIPcLm2EELi4EEEEEvT0_T1_.has_recursion, 0
	.set .L_ZN2at6native25elementwise_kernel_helperILb0EZZZNS0_12_GLOBAL__N_130modified_bessel_i0_kernel_cudaERNS_18TensorIteratorBaseEENKUlvE_clEvENKUlvE_clEvEUldE_NS0_6memory8policies10vectorizedILi4ESt5arrayIPcLm2EELi4EEEEEvT0_T1_.has_indirect_call, 0
	.section	.AMDGPU.csdata,"",@progbits
; Function info:
; codeLenInByte = 11648
; TotalNumSgprs: 36
; NumVgprs: 32
; ScratchSize: 0
; MemoryBound: 0
	.section	.text._ZN2at6native29vectorized_elementwise_kernelILi16EZZZNS0_12_GLOBAL__N_130modified_bessel_i0_kernel_cudaERNS_18TensorIteratorBaseEENKUlvE_clEvENKUlvE_clEvEUldE_St5arrayIPcLm2EEEEviT0_T1_,"axG",@progbits,_ZN2at6native29vectorized_elementwise_kernelILi16EZZZNS0_12_GLOBAL__N_130modified_bessel_i0_kernel_cudaERNS_18TensorIteratorBaseEENKUlvE_clEvENKUlvE_clEvEUldE_St5arrayIPcLm2EEEEviT0_T1_,comdat
	.globl	_ZN2at6native29vectorized_elementwise_kernelILi16EZZZNS0_12_GLOBAL__N_130modified_bessel_i0_kernel_cudaERNS_18TensorIteratorBaseEENKUlvE_clEvENKUlvE_clEvEUldE_St5arrayIPcLm2EEEEviT0_T1_ ; -- Begin function _ZN2at6native29vectorized_elementwise_kernelILi16EZZZNS0_12_GLOBAL__N_130modified_bessel_i0_kernel_cudaERNS_18TensorIteratorBaseEENKUlvE_clEvENKUlvE_clEvEUldE_St5arrayIPcLm2EEEEviT0_T1_
	.p2align	8
	.type	_ZN2at6native29vectorized_elementwise_kernelILi16EZZZNS0_12_GLOBAL__N_130modified_bessel_i0_kernel_cudaERNS_18TensorIteratorBaseEENKUlvE_clEvENKUlvE_clEvEUldE_St5arrayIPcLm2EEEEviT0_T1_,@function
_ZN2at6native29vectorized_elementwise_kernelILi16EZZZNS0_12_GLOBAL__N_130modified_bessel_i0_kernel_cudaERNS_18TensorIteratorBaseEENKUlvE_clEvENKUlvE_clEvEUldE_St5arrayIPcLm2EEEEviT0_T1_: ; @_ZN2at6native29vectorized_elementwise_kernelILi16EZZZNS0_12_GLOBAL__N_130modified_bessel_i0_kernel_cudaERNS_18TensorIteratorBaseEENKUlvE_clEvENKUlvE_clEvEUldE_St5arrayIPcLm2EEEEviT0_T1_
; %bb.0:
	s_mov_b32 s12, s6
	s_load_dword s6, s[4:5], 0x0
	s_load_dwordx4 s[16:19], s[4:5], 0x8
	s_add_u32 s0, s0, s7
	s_addc_u32 s1, s1, 0
	s_lshl_b32 s4, s12, 10
	s_waitcnt lgkmcnt(0)
	s_sub_i32 s13, s6, s4
	v_mov_b32_e32 v31, v0
	s_cmpk_gt_i32 s13, 0x3ff
	s_mov_b64 s[4:5], -1
	s_mov_b32 s32, 0
	s_cbranch_scc1 .LBB2_3
; %bb.1:
	s_andn2_b64 vcc, exec, s[4:5]
	s_cbranch_vccz .LBB2_4
.LBB2_2:
	s_endpgm
.LBB2_3:
	s_getpc_b64 s[4:5]
	s_add_u32 s4, s4, _ZN2at6native25elementwise_kernel_helperILb0EZZZNS0_12_GLOBAL__N_130modified_bessel_i0_kernel_cudaERNS_18TensorIteratorBaseEENKUlvE_clEvENKUlvE_clEvEUldE_NS0_6memory8policies10vectorizedILi4ESt5arrayIPcLm2EELi4EEEEEvT0_T1_@rel32@lo+4
	s_addc_u32 s5, s5, _ZN2at6native25elementwise_kernel_helperILb0EZZZNS0_12_GLOBAL__N_130modified_bessel_i0_kernel_cudaERNS_18TensorIteratorBaseEENKUlvE_clEvENKUlvE_clEvEUldE_NS0_6memory8policies10vectorizedILi4ESt5arrayIPcLm2EELi4EEEEEvT0_T1_@rel32@hi+12
	v_mov_b32_e32 v0, s16
	v_mov_b32_e32 v1, s17
	;; [unrolled: 1-line block ×4, first 2 shown]
	s_swappc_b64 s[30:31], s[4:5]
	s_cbranch_execnz .LBB2_2
.LBB2_4:
	s_getpc_b64 s[4:5]
	s_add_u32 s4, s4, _ZN2at6native25elementwise_kernel_helperILb0EZZZNS0_12_GLOBAL__N_130modified_bessel_i0_kernel_cudaERNS_18TensorIteratorBaseEENKUlvE_clEvENKUlvE_clEvEUldE_NS0_6memory8policies11unroll_baseILi256ESt5arrayIPcLm2EE23TrivialOffsetCalculatorILi1EjESF_NS8_15LoadWithoutCastENS8_16StoreWithoutCastELi4ELi1EEEEEvT0_T1_@rel32@lo+4
	s_addc_u32 s5, s5, _ZN2at6native25elementwise_kernel_helperILb0EZZZNS0_12_GLOBAL__N_130modified_bessel_i0_kernel_cudaERNS_18TensorIteratorBaseEENKUlvE_clEvENKUlvE_clEvEUldE_NS0_6memory8policies11unroll_baseILi256ESt5arrayIPcLm2EE23TrivialOffsetCalculatorILi1EjESF_NS8_15LoadWithoutCastENS8_16StoreWithoutCastELi4ELi1EEEEEvT0_T1_@rel32@hi+12
	v_mov_b32_e32 v0, s16
	v_mov_b32_e32 v1, s17
	;; [unrolled: 1-line block ×5, first 2 shown]
	s_swappc_b64 s[30:31], s[4:5]
	s_endpgm
	.section	.rodata,"a",@progbits
	.p2align	6, 0x0
	.amdhsa_kernel _ZN2at6native29vectorized_elementwise_kernelILi16EZZZNS0_12_GLOBAL__N_130modified_bessel_i0_kernel_cudaERNS_18TensorIteratorBaseEENKUlvE_clEvENKUlvE_clEvEUldE_St5arrayIPcLm2EEEEviT0_T1_
		.amdhsa_group_segment_fixed_size 0
		.amdhsa_private_segment_fixed_size 0
		.amdhsa_kernarg_size 24
		.amdhsa_user_sgpr_count 6
		.amdhsa_user_sgpr_private_segment_buffer 1
		.amdhsa_user_sgpr_dispatch_ptr 0
		.amdhsa_user_sgpr_queue_ptr 0
		.amdhsa_user_sgpr_kernarg_segment_ptr 1
		.amdhsa_user_sgpr_dispatch_id 0
		.amdhsa_user_sgpr_flat_scratch_init 0
		.amdhsa_user_sgpr_private_segment_size 0
		.amdhsa_uses_dynamic_stack 0
		.amdhsa_system_sgpr_private_segment_wavefront_offset 0
		.amdhsa_system_sgpr_workgroup_id_x 1
		.amdhsa_system_sgpr_workgroup_id_y 0
		.amdhsa_system_sgpr_workgroup_id_z 0
		.amdhsa_system_sgpr_workgroup_info 0
		.amdhsa_system_vgpr_workitem_id 0
		.amdhsa_next_free_vgpr 32
		.amdhsa_next_free_sgpr 33
		.amdhsa_reserve_vcc 1
		.amdhsa_reserve_flat_scratch 0
		.amdhsa_float_round_mode_32 0
		.amdhsa_float_round_mode_16_64 0
		.amdhsa_float_denorm_mode_32 3
		.amdhsa_float_denorm_mode_16_64 3
		.amdhsa_dx10_clamp 1
		.amdhsa_ieee_mode 1
		.amdhsa_fp16_overflow 0
		.amdhsa_exception_fp_ieee_invalid_op 0
		.amdhsa_exception_fp_denorm_src 0
		.amdhsa_exception_fp_ieee_div_zero 0
		.amdhsa_exception_fp_ieee_overflow 0
		.amdhsa_exception_fp_ieee_underflow 0
		.amdhsa_exception_fp_ieee_inexact 0
		.amdhsa_exception_int_div_zero 0
	.end_amdhsa_kernel
	.section	.text._ZN2at6native29vectorized_elementwise_kernelILi16EZZZNS0_12_GLOBAL__N_130modified_bessel_i0_kernel_cudaERNS_18TensorIteratorBaseEENKUlvE_clEvENKUlvE_clEvEUldE_St5arrayIPcLm2EEEEviT0_T1_,"axG",@progbits,_ZN2at6native29vectorized_elementwise_kernelILi16EZZZNS0_12_GLOBAL__N_130modified_bessel_i0_kernel_cudaERNS_18TensorIteratorBaseEENKUlvE_clEvENKUlvE_clEvEUldE_St5arrayIPcLm2EEEEviT0_T1_,comdat
.Lfunc_end2:
	.size	_ZN2at6native29vectorized_elementwise_kernelILi16EZZZNS0_12_GLOBAL__N_130modified_bessel_i0_kernel_cudaERNS_18TensorIteratorBaseEENKUlvE_clEvENKUlvE_clEvEUldE_St5arrayIPcLm2EEEEviT0_T1_, .Lfunc_end2-_ZN2at6native29vectorized_elementwise_kernelILi16EZZZNS0_12_GLOBAL__N_130modified_bessel_i0_kernel_cudaERNS_18TensorIteratorBaseEENKUlvE_clEvENKUlvE_clEvEUldE_St5arrayIPcLm2EEEEviT0_T1_
                                        ; -- End function
	.set _ZN2at6native29vectorized_elementwise_kernelILi16EZZZNS0_12_GLOBAL__N_130modified_bessel_i0_kernel_cudaERNS_18TensorIteratorBaseEENKUlvE_clEvENKUlvE_clEvEUldE_St5arrayIPcLm2EEEEviT0_T1_.num_vgpr, max(32, .L_ZN2at6native25elementwise_kernel_helperILb0EZZZNS0_12_GLOBAL__N_130modified_bessel_i0_kernel_cudaERNS_18TensorIteratorBaseEENKUlvE_clEvENKUlvE_clEvEUldE_NS0_6memory8policies10vectorizedILi4ESt5arrayIPcLm2EELi4EEEEEvT0_T1_.num_vgpr, .L_ZN2at6native25elementwise_kernel_helperILb0EZZZNS0_12_GLOBAL__N_130modified_bessel_i0_kernel_cudaERNS_18TensorIteratorBaseEENKUlvE_clEvENKUlvE_clEvEUldE_NS0_6memory8policies11unroll_baseILi256ESt5arrayIPcLm2EE23TrivialOffsetCalculatorILi1EjESF_NS8_15LoadWithoutCastENS8_16StoreWithoutCastELi4ELi1EEEEEvT0_T1_.num_vgpr)
	.set _ZN2at6native29vectorized_elementwise_kernelILi16EZZZNS0_12_GLOBAL__N_130modified_bessel_i0_kernel_cudaERNS_18TensorIteratorBaseEENKUlvE_clEvENKUlvE_clEvEUldE_St5arrayIPcLm2EEEEviT0_T1_.num_agpr, max(0, .L_ZN2at6native25elementwise_kernel_helperILb0EZZZNS0_12_GLOBAL__N_130modified_bessel_i0_kernel_cudaERNS_18TensorIteratorBaseEENKUlvE_clEvENKUlvE_clEvEUldE_NS0_6memory8policies10vectorizedILi4ESt5arrayIPcLm2EELi4EEEEEvT0_T1_.num_agpr, .L_ZN2at6native25elementwise_kernel_helperILb0EZZZNS0_12_GLOBAL__N_130modified_bessel_i0_kernel_cudaERNS_18TensorIteratorBaseEENKUlvE_clEvENKUlvE_clEvEUldE_NS0_6memory8policies11unroll_baseILi256ESt5arrayIPcLm2EE23TrivialOffsetCalculatorILi1EjESF_NS8_15LoadWithoutCastENS8_16StoreWithoutCastELi4ELi1EEEEEvT0_T1_.num_agpr)
	.set _ZN2at6native29vectorized_elementwise_kernelILi16EZZZNS0_12_GLOBAL__N_130modified_bessel_i0_kernel_cudaERNS_18TensorIteratorBaseEENKUlvE_clEvENKUlvE_clEvEUldE_St5arrayIPcLm2EEEEviT0_T1_.numbered_sgpr, max(33, .L_ZN2at6native25elementwise_kernel_helperILb0EZZZNS0_12_GLOBAL__N_130modified_bessel_i0_kernel_cudaERNS_18TensorIteratorBaseEENKUlvE_clEvENKUlvE_clEvEUldE_NS0_6memory8policies10vectorizedILi4ESt5arrayIPcLm2EELi4EEEEEvT0_T1_.numbered_sgpr, .L_ZN2at6native25elementwise_kernel_helperILb0EZZZNS0_12_GLOBAL__N_130modified_bessel_i0_kernel_cudaERNS_18TensorIteratorBaseEENKUlvE_clEvENKUlvE_clEvEUldE_NS0_6memory8policies11unroll_baseILi256ESt5arrayIPcLm2EE23TrivialOffsetCalculatorILi1EjESF_NS8_15LoadWithoutCastENS8_16StoreWithoutCastELi4ELi1EEEEEvT0_T1_.numbered_sgpr)
	.set _ZN2at6native29vectorized_elementwise_kernelILi16EZZZNS0_12_GLOBAL__N_130modified_bessel_i0_kernel_cudaERNS_18TensorIteratorBaseEENKUlvE_clEvENKUlvE_clEvEUldE_St5arrayIPcLm2EEEEviT0_T1_.num_named_barrier, max(0, .L_ZN2at6native25elementwise_kernel_helperILb0EZZZNS0_12_GLOBAL__N_130modified_bessel_i0_kernel_cudaERNS_18TensorIteratorBaseEENKUlvE_clEvENKUlvE_clEvEUldE_NS0_6memory8policies10vectorizedILi4ESt5arrayIPcLm2EELi4EEEEEvT0_T1_.num_named_barrier, .L_ZN2at6native25elementwise_kernel_helperILb0EZZZNS0_12_GLOBAL__N_130modified_bessel_i0_kernel_cudaERNS_18TensorIteratorBaseEENKUlvE_clEvENKUlvE_clEvEUldE_NS0_6memory8policies11unroll_baseILi256ESt5arrayIPcLm2EE23TrivialOffsetCalculatorILi1EjESF_NS8_15LoadWithoutCastENS8_16StoreWithoutCastELi4ELi1EEEEEvT0_T1_.num_named_barrier)
	.set _ZN2at6native29vectorized_elementwise_kernelILi16EZZZNS0_12_GLOBAL__N_130modified_bessel_i0_kernel_cudaERNS_18TensorIteratorBaseEENKUlvE_clEvENKUlvE_clEvEUldE_St5arrayIPcLm2EEEEviT0_T1_.private_seg_size, 0+max(.L_ZN2at6native25elementwise_kernel_helperILb0EZZZNS0_12_GLOBAL__N_130modified_bessel_i0_kernel_cudaERNS_18TensorIteratorBaseEENKUlvE_clEvENKUlvE_clEvEUldE_NS0_6memory8policies10vectorizedILi4ESt5arrayIPcLm2EELi4EEEEEvT0_T1_.private_seg_size, .L_ZN2at6native25elementwise_kernel_helperILb0EZZZNS0_12_GLOBAL__N_130modified_bessel_i0_kernel_cudaERNS_18TensorIteratorBaseEENKUlvE_clEvENKUlvE_clEvEUldE_NS0_6memory8policies11unroll_baseILi256ESt5arrayIPcLm2EE23TrivialOffsetCalculatorILi1EjESF_NS8_15LoadWithoutCastENS8_16StoreWithoutCastELi4ELi1EEEEEvT0_T1_.private_seg_size)
	.set _ZN2at6native29vectorized_elementwise_kernelILi16EZZZNS0_12_GLOBAL__N_130modified_bessel_i0_kernel_cudaERNS_18TensorIteratorBaseEENKUlvE_clEvENKUlvE_clEvEUldE_St5arrayIPcLm2EEEEviT0_T1_.uses_vcc, or(1, .L_ZN2at6native25elementwise_kernel_helperILb0EZZZNS0_12_GLOBAL__N_130modified_bessel_i0_kernel_cudaERNS_18TensorIteratorBaseEENKUlvE_clEvENKUlvE_clEvEUldE_NS0_6memory8policies10vectorizedILi4ESt5arrayIPcLm2EELi4EEEEEvT0_T1_.uses_vcc, .L_ZN2at6native25elementwise_kernel_helperILb0EZZZNS0_12_GLOBAL__N_130modified_bessel_i0_kernel_cudaERNS_18TensorIteratorBaseEENKUlvE_clEvENKUlvE_clEvEUldE_NS0_6memory8policies11unroll_baseILi256ESt5arrayIPcLm2EE23TrivialOffsetCalculatorILi1EjESF_NS8_15LoadWithoutCastENS8_16StoreWithoutCastELi4ELi1EEEEEvT0_T1_.uses_vcc)
	.set _ZN2at6native29vectorized_elementwise_kernelILi16EZZZNS0_12_GLOBAL__N_130modified_bessel_i0_kernel_cudaERNS_18TensorIteratorBaseEENKUlvE_clEvENKUlvE_clEvEUldE_St5arrayIPcLm2EEEEviT0_T1_.uses_flat_scratch, or(0, .L_ZN2at6native25elementwise_kernel_helperILb0EZZZNS0_12_GLOBAL__N_130modified_bessel_i0_kernel_cudaERNS_18TensorIteratorBaseEENKUlvE_clEvENKUlvE_clEvEUldE_NS0_6memory8policies10vectorizedILi4ESt5arrayIPcLm2EELi4EEEEEvT0_T1_.uses_flat_scratch, .L_ZN2at6native25elementwise_kernel_helperILb0EZZZNS0_12_GLOBAL__N_130modified_bessel_i0_kernel_cudaERNS_18TensorIteratorBaseEENKUlvE_clEvENKUlvE_clEvEUldE_NS0_6memory8policies11unroll_baseILi256ESt5arrayIPcLm2EE23TrivialOffsetCalculatorILi1EjESF_NS8_15LoadWithoutCastENS8_16StoreWithoutCastELi4ELi1EEEEEvT0_T1_.uses_flat_scratch)
	.set _ZN2at6native29vectorized_elementwise_kernelILi16EZZZNS0_12_GLOBAL__N_130modified_bessel_i0_kernel_cudaERNS_18TensorIteratorBaseEENKUlvE_clEvENKUlvE_clEvEUldE_St5arrayIPcLm2EEEEviT0_T1_.has_dyn_sized_stack, or(0, .L_ZN2at6native25elementwise_kernel_helperILb0EZZZNS0_12_GLOBAL__N_130modified_bessel_i0_kernel_cudaERNS_18TensorIteratorBaseEENKUlvE_clEvENKUlvE_clEvEUldE_NS0_6memory8policies10vectorizedILi4ESt5arrayIPcLm2EELi4EEEEEvT0_T1_.has_dyn_sized_stack, .L_ZN2at6native25elementwise_kernel_helperILb0EZZZNS0_12_GLOBAL__N_130modified_bessel_i0_kernel_cudaERNS_18TensorIteratorBaseEENKUlvE_clEvENKUlvE_clEvEUldE_NS0_6memory8policies11unroll_baseILi256ESt5arrayIPcLm2EE23TrivialOffsetCalculatorILi1EjESF_NS8_15LoadWithoutCastENS8_16StoreWithoutCastELi4ELi1EEEEEvT0_T1_.has_dyn_sized_stack)
	.set _ZN2at6native29vectorized_elementwise_kernelILi16EZZZNS0_12_GLOBAL__N_130modified_bessel_i0_kernel_cudaERNS_18TensorIteratorBaseEENKUlvE_clEvENKUlvE_clEvEUldE_St5arrayIPcLm2EEEEviT0_T1_.has_recursion, or(0, .L_ZN2at6native25elementwise_kernel_helperILb0EZZZNS0_12_GLOBAL__N_130modified_bessel_i0_kernel_cudaERNS_18TensorIteratorBaseEENKUlvE_clEvENKUlvE_clEvEUldE_NS0_6memory8policies10vectorizedILi4ESt5arrayIPcLm2EELi4EEEEEvT0_T1_.has_recursion, .L_ZN2at6native25elementwise_kernel_helperILb0EZZZNS0_12_GLOBAL__N_130modified_bessel_i0_kernel_cudaERNS_18TensorIteratorBaseEENKUlvE_clEvENKUlvE_clEvEUldE_NS0_6memory8policies11unroll_baseILi256ESt5arrayIPcLm2EE23TrivialOffsetCalculatorILi1EjESF_NS8_15LoadWithoutCastENS8_16StoreWithoutCastELi4ELi1EEEEEvT0_T1_.has_recursion)
	.set _ZN2at6native29vectorized_elementwise_kernelILi16EZZZNS0_12_GLOBAL__N_130modified_bessel_i0_kernel_cudaERNS_18TensorIteratorBaseEENKUlvE_clEvENKUlvE_clEvEUldE_St5arrayIPcLm2EEEEviT0_T1_.has_indirect_call, or(0, .L_ZN2at6native25elementwise_kernel_helperILb0EZZZNS0_12_GLOBAL__N_130modified_bessel_i0_kernel_cudaERNS_18TensorIteratorBaseEENKUlvE_clEvENKUlvE_clEvEUldE_NS0_6memory8policies10vectorizedILi4ESt5arrayIPcLm2EELi4EEEEEvT0_T1_.has_indirect_call, .L_ZN2at6native25elementwise_kernel_helperILb0EZZZNS0_12_GLOBAL__N_130modified_bessel_i0_kernel_cudaERNS_18TensorIteratorBaseEENKUlvE_clEvENKUlvE_clEvEUldE_NS0_6memory8policies11unroll_baseILi256ESt5arrayIPcLm2EE23TrivialOffsetCalculatorILi1EjESF_NS8_15LoadWithoutCastENS8_16StoreWithoutCastELi4ELi1EEEEEvT0_T1_.has_indirect_call)
	.section	.AMDGPU.csdata,"",@progbits
; Kernel info:
; codeLenInByte = 164
; TotalNumSgprs: 37
; NumVgprs: 32
; ScratchSize: 0
; MemoryBound: 0
; FloatMode: 240
; IeeeMode: 1
; LDSByteSize: 0 bytes/workgroup (compile time only)
; SGPRBlocks: 4
; VGPRBlocks: 7
; NumSGPRsForWavesPerEU: 37
; NumVGPRsForWavesPerEU: 32
; Occupancy: 8
; WaveLimiterHint : 0
; COMPUTE_PGM_RSRC2:SCRATCH_EN: 0
; COMPUTE_PGM_RSRC2:USER_SGPR: 6
; COMPUTE_PGM_RSRC2:TRAP_HANDLER: 0
; COMPUTE_PGM_RSRC2:TGID_X_EN: 1
; COMPUTE_PGM_RSRC2:TGID_Y_EN: 0
; COMPUTE_PGM_RSRC2:TGID_Z_EN: 0
; COMPUTE_PGM_RSRC2:TIDIG_COMP_CNT: 0
	.section	.text._ZN2at6native29vectorized_elementwise_kernelILi8EZZZNS0_12_GLOBAL__N_130modified_bessel_i0_kernel_cudaERNS_18TensorIteratorBaseEENKUlvE_clEvENKUlvE_clEvEUldE_St5arrayIPcLm2EEEEviT0_T1_,"axG",@progbits,_ZN2at6native29vectorized_elementwise_kernelILi8EZZZNS0_12_GLOBAL__N_130modified_bessel_i0_kernel_cudaERNS_18TensorIteratorBaseEENKUlvE_clEvENKUlvE_clEvEUldE_St5arrayIPcLm2EEEEviT0_T1_,comdat
	.globl	_ZN2at6native29vectorized_elementwise_kernelILi8EZZZNS0_12_GLOBAL__N_130modified_bessel_i0_kernel_cudaERNS_18TensorIteratorBaseEENKUlvE_clEvENKUlvE_clEvEUldE_St5arrayIPcLm2EEEEviT0_T1_ ; -- Begin function _ZN2at6native29vectorized_elementwise_kernelILi8EZZZNS0_12_GLOBAL__N_130modified_bessel_i0_kernel_cudaERNS_18TensorIteratorBaseEENKUlvE_clEvENKUlvE_clEvEUldE_St5arrayIPcLm2EEEEviT0_T1_
	.p2align	8
	.type	_ZN2at6native29vectorized_elementwise_kernelILi8EZZZNS0_12_GLOBAL__N_130modified_bessel_i0_kernel_cudaERNS_18TensorIteratorBaseEENKUlvE_clEvENKUlvE_clEvEUldE_St5arrayIPcLm2EEEEviT0_T1_,@function
_ZN2at6native29vectorized_elementwise_kernelILi8EZZZNS0_12_GLOBAL__N_130modified_bessel_i0_kernel_cudaERNS_18TensorIteratorBaseEENKUlvE_clEvENKUlvE_clEvEUldE_St5arrayIPcLm2EEEEviT0_T1_: ; @_ZN2at6native29vectorized_elementwise_kernelILi8EZZZNS0_12_GLOBAL__N_130modified_bessel_i0_kernel_cudaERNS_18TensorIteratorBaseEENKUlvE_clEvENKUlvE_clEvEUldE_St5arrayIPcLm2EEEEviT0_T1_
; %bb.0:
	s_mov_b32 s12, s6
	s_load_dword s6, s[4:5], 0x0
	s_load_dwordx4 s[16:19], s[4:5], 0x8
	s_add_u32 s0, s0, s7
	s_addc_u32 s1, s1, 0
	s_lshl_b32 s4, s12, 10
	s_waitcnt lgkmcnt(0)
	s_sub_i32 s13, s6, s4
	v_mov_b32_e32 v31, v0
	s_cmpk_gt_i32 s13, 0x3ff
	s_mov_b64 s[4:5], -1
	s_mov_b32 s32, 0
	s_cbranch_scc1 .LBB3_3
; %bb.1:
	s_andn2_b64 vcc, exec, s[4:5]
	s_cbranch_vccz .LBB3_4
.LBB3_2:
	s_endpgm
.LBB3_3:
	s_getpc_b64 s[4:5]
	s_add_u32 s4, s4, _ZN2at6native25elementwise_kernel_helperILb0EZZZNS0_12_GLOBAL__N_130modified_bessel_i0_kernel_cudaERNS_18TensorIteratorBaseEENKUlvE_clEvENKUlvE_clEvEUldE_NS0_6memory8policies10vectorizedILi4ESt5arrayIPcLm2EELi4EEEEEvT0_T1_@rel32@lo+4
	s_addc_u32 s5, s5, _ZN2at6native25elementwise_kernel_helperILb0EZZZNS0_12_GLOBAL__N_130modified_bessel_i0_kernel_cudaERNS_18TensorIteratorBaseEENKUlvE_clEvENKUlvE_clEvEUldE_NS0_6memory8policies10vectorizedILi4ESt5arrayIPcLm2EELi4EEEEEvT0_T1_@rel32@hi+12
	v_mov_b32_e32 v0, s16
	v_mov_b32_e32 v1, s17
	;; [unrolled: 1-line block ×4, first 2 shown]
	s_swappc_b64 s[30:31], s[4:5]
	s_cbranch_execnz .LBB3_2
.LBB3_4:
	s_getpc_b64 s[4:5]
	s_add_u32 s4, s4, _ZN2at6native25elementwise_kernel_helperILb0EZZZNS0_12_GLOBAL__N_130modified_bessel_i0_kernel_cudaERNS_18TensorIteratorBaseEENKUlvE_clEvENKUlvE_clEvEUldE_NS0_6memory8policies11unroll_baseILi256ESt5arrayIPcLm2EE23TrivialOffsetCalculatorILi1EjESF_NS8_15LoadWithoutCastENS8_16StoreWithoutCastELi4ELi1EEEEEvT0_T1_@rel32@lo+4
	s_addc_u32 s5, s5, _ZN2at6native25elementwise_kernel_helperILb0EZZZNS0_12_GLOBAL__N_130modified_bessel_i0_kernel_cudaERNS_18TensorIteratorBaseEENKUlvE_clEvENKUlvE_clEvEUldE_NS0_6memory8policies11unroll_baseILi256ESt5arrayIPcLm2EE23TrivialOffsetCalculatorILi1EjESF_NS8_15LoadWithoutCastENS8_16StoreWithoutCastELi4ELi1EEEEEvT0_T1_@rel32@hi+12
	v_mov_b32_e32 v0, s16
	v_mov_b32_e32 v1, s17
	;; [unrolled: 1-line block ×5, first 2 shown]
	s_swappc_b64 s[30:31], s[4:5]
	s_endpgm
	.section	.rodata,"a",@progbits
	.p2align	6, 0x0
	.amdhsa_kernel _ZN2at6native29vectorized_elementwise_kernelILi8EZZZNS0_12_GLOBAL__N_130modified_bessel_i0_kernel_cudaERNS_18TensorIteratorBaseEENKUlvE_clEvENKUlvE_clEvEUldE_St5arrayIPcLm2EEEEviT0_T1_
		.amdhsa_group_segment_fixed_size 0
		.amdhsa_private_segment_fixed_size 0
		.amdhsa_kernarg_size 24
		.amdhsa_user_sgpr_count 6
		.amdhsa_user_sgpr_private_segment_buffer 1
		.amdhsa_user_sgpr_dispatch_ptr 0
		.amdhsa_user_sgpr_queue_ptr 0
		.amdhsa_user_sgpr_kernarg_segment_ptr 1
		.amdhsa_user_sgpr_dispatch_id 0
		.amdhsa_user_sgpr_flat_scratch_init 0
		.amdhsa_user_sgpr_private_segment_size 0
		.amdhsa_uses_dynamic_stack 0
		.amdhsa_system_sgpr_private_segment_wavefront_offset 0
		.amdhsa_system_sgpr_workgroup_id_x 1
		.amdhsa_system_sgpr_workgroup_id_y 0
		.amdhsa_system_sgpr_workgroup_id_z 0
		.amdhsa_system_sgpr_workgroup_info 0
		.amdhsa_system_vgpr_workitem_id 0
		.amdhsa_next_free_vgpr 32
		.amdhsa_next_free_sgpr 33
		.amdhsa_reserve_vcc 1
		.amdhsa_reserve_flat_scratch 0
		.amdhsa_float_round_mode_32 0
		.amdhsa_float_round_mode_16_64 0
		.amdhsa_float_denorm_mode_32 3
		.amdhsa_float_denorm_mode_16_64 3
		.amdhsa_dx10_clamp 1
		.amdhsa_ieee_mode 1
		.amdhsa_fp16_overflow 0
		.amdhsa_exception_fp_ieee_invalid_op 0
		.amdhsa_exception_fp_denorm_src 0
		.amdhsa_exception_fp_ieee_div_zero 0
		.amdhsa_exception_fp_ieee_overflow 0
		.amdhsa_exception_fp_ieee_underflow 0
		.amdhsa_exception_fp_ieee_inexact 0
		.amdhsa_exception_int_div_zero 0
	.end_amdhsa_kernel
	.section	.text._ZN2at6native29vectorized_elementwise_kernelILi8EZZZNS0_12_GLOBAL__N_130modified_bessel_i0_kernel_cudaERNS_18TensorIteratorBaseEENKUlvE_clEvENKUlvE_clEvEUldE_St5arrayIPcLm2EEEEviT0_T1_,"axG",@progbits,_ZN2at6native29vectorized_elementwise_kernelILi8EZZZNS0_12_GLOBAL__N_130modified_bessel_i0_kernel_cudaERNS_18TensorIteratorBaseEENKUlvE_clEvENKUlvE_clEvEUldE_St5arrayIPcLm2EEEEviT0_T1_,comdat
.Lfunc_end3:
	.size	_ZN2at6native29vectorized_elementwise_kernelILi8EZZZNS0_12_GLOBAL__N_130modified_bessel_i0_kernel_cudaERNS_18TensorIteratorBaseEENKUlvE_clEvENKUlvE_clEvEUldE_St5arrayIPcLm2EEEEviT0_T1_, .Lfunc_end3-_ZN2at6native29vectorized_elementwise_kernelILi8EZZZNS0_12_GLOBAL__N_130modified_bessel_i0_kernel_cudaERNS_18TensorIteratorBaseEENKUlvE_clEvENKUlvE_clEvEUldE_St5arrayIPcLm2EEEEviT0_T1_
                                        ; -- End function
	.set _ZN2at6native29vectorized_elementwise_kernelILi8EZZZNS0_12_GLOBAL__N_130modified_bessel_i0_kernel_cudaERNS_18TensorIteratorBaseEENKUlvE_clEvENKUlvE_clEvEUldE_St5arrayIPcLm2EEEEviT0_T1_.num_vgpr, max(32, .L_ZN2at6native25elementwise_kernel_helperILb0EZZZNS0_12_GLOBAL__N_130modified_bessel_i0_kernel_cudaERNS_18TensorIteratorBaseEENKUlvE_clEvENKUlvE_clEvEUldE_NS0_6memory8policies10vectorizedILi4ESt5arrayIPcLm2EELi4EEEEEvT0_T1_.num_vgpr, .L_ZN2at6native25elementwise_kernel_helperILb0EZZZNS0_12_GLOBAL__N_130modified_bessel_i0_kernel_cudaERNS_18TensorIteratorBaseEENKUlvE_clEvENKUlvE_clEvEUldE_NS0_6memory8policies11unroll_baseILi256ESt5arrayIPcLm2EE23TrivialOffsetCalculatorILi1EjESF_NS8_15LoadWithoutCastENS8_16StoreWithoutCastELi4ELi1EEEEEvT0_T1_.num_vgpr)
	.set _ZN2at6native29vectorized_elementwise_kernelILi8EZZZNS0_12_GLOBAL__N_130modified_bessel_i0_kernel_cudaERNS_18TensorIteratorBaseEENKUlvE_clEvENKUlvE_clEvEUldE_St5arrayIPcLm2EEEEviT0_T1_.num_agpr, max(0, .L_ZN2at6native25elementwise_kernel_helperILb0EZZZNS0_12_GLOBAL__N_130modified_bessel_i0_kernel_cudaERNS_18TensorIteratorBaseEENKUlvE_clEvENKUlvE_clEvEUldE_NS0_6memory8policies10vectorizedILi4ESt5arrayIPcLm2EELi4EEEEEvT0_T1_.num_agpr, .L_ZN2at6native25elementwise_kernel_helperILb0EZZZNS0_12_GLOBAL__N_130modified_bessel_i0_kernel_cudaERNS_18TensorIteratorBaseEENKUlvE_clEvENKUlvE_clEvEUldE_NS0_6memory8policies11unroll_baseILi256ESt5arrayIPcLm2EE23TrivialOffsetCalculatorILi1EjESF_NS8_15LoadWithoutCastENS8_16StoreWithoutCastELi4ELi1EEEEEvT0_T1_.num_agpr)
	.set _ZN2at6native29vectorized_elementwise_kernelILi8EZZZNS0_12_GLOBAL__N_130modified_bessel_i0_kernel_cudaERNS_18TensorIteratorBaseEENKUlvE_clEvENKUlvE_clEvEUldE_St5arrayIPcLm2EEEEviT0_T1_.numbered_sgpr, max(33, .L_ZN2at6native25elementwise_kernel_helperILb0EZZZNS0_12_GLOBAL__N_130modified_bessel_i0_kernel_cudaERNS_18TensorIteratorBaseEENKUlvE_clEvENKUlvE_clEvEUldE_NS0_6memory8policies10vectorizedILi4ESt5arrayIPcLm2EELi4EEEEEvT0_T1_.numbered_sgpr, .L_ZN2at6native25elementwise_kernel_helperILb0EZZZNS0_12_GLOBAL__N_130modified_bessel_i0_kernel_cudaERNS_18TensorIteratorBaseEENKUlvE_clEvENKUlvE_clEvEUldE_NS0_6memory8policies11unroll_baseILi256ESt5arrayIPcLm2EE23TrivialOffsetCalculatorILi1EjESF_NS8_15LoadWithoutCastENS8_16StoreWithoutCastELi4ELi1EEEEEvT0_T1_.numbered_sgpr)
	.set _ZN2at6native29vectorized_elementwise_kernelILi8EZZZNS0_12_GLOBAL__N_130modified_bessel_i0_kernel_cudaERNS_18TensorIteratorBaseEENKUlvE_clEvENKUlvE_clEvEUldE_St5arrayIPcLm2EEEEviT0_T1_.num_named_barrier, max(0, .L_ZN2at6native25elementwise_kernel_helperILb0EZZZNS0_12_GLOBAL__N_130modified_bessel_i0_kernel_cudaERNS_18TensorIteratorBaseEENKUlvE_clEvENKUlvE_clEvEUldE_NS0_6memory8policies10vectorizedILi4ESt5arrayIPcLm2EELi4EEEEEvT0_T1_.num_named_barrier, .L_ZN2at6native25elementwise_kernel_helperILb0EZZZNS0_12_GLOBAL__N_130modified_bessel_i0_kernel_cudaERNS_18TensorIteratorBaseEENKUlvE_clEvENKUlvE_clEvEUldE_NS0_6memory8policies11unroll_baseILi256ESt5arrayIPcLm2EE23TrivialOffsetCalculatorILi1EjESF_NS8_15LoadWithoutCastENS8_16StoreWithoutCastELi4ELi1EEEEEvT0_T1_.num_named_barrier)
	.set _ZN2at6native29vectorized_elementwise_kernelILi8EZZZNS0_12_GLOBAL__N_130modified_bessel_i0_kernel_cudaERNS_18TensorIteratorBaseEENKUlvE_clEvENKUlvE_clEvEUldE_St5arrayIPcLm2EEEEviT0_T1_.private_seg_size, 0+max(.L_ZN2at6native25elementwise_kernel_helperILb0EZZZNS0_12_GLOBAL__N_130modified_bessel_i0_kernel_cudaERNS_18TensorIteratorBaseEENKUlvE_clEvENKUlvE_clEvEUldE_NS0_6memory8policies10vectorizedILi4ESt5arrayIPcLm2EELi4EEEEEvT0_T1_.private_seg_size, .L_ZN2at6native25elementwise_kernel_helperILb0EZZZNS0_12_GLOBAL__N_130modified_bessel_i0_kernel_cudaERNS_18TensorIteratorBaseEENKUlvE_clEvENKUlvE_clEvEUldE_NS0_6memory8policies11unroll_baseILi256ESt5arrayIPcLm2EE23TrivialOffsetCalculatorILi1EjESF_NS8_15LoadWithoutCastENS8_16StoreWithoutCastELi4ELi1EEEEEvT0_T1_.private_seg_size)
	.set _ZN2at6native29vectorized_elementwise_kernelILi8EZZZNS0_12_GLOBAL__N_130modified_bessel_i0_kernel_cudaERNS_18TensorIteratorBaseEENKUlvE_clEvENKUlvE_clEvEUldE_St5arrayIPcLm2EEEEviT0_T1_.uses_vcc, or(1, .L_ZN2at6native25elementwise_kernel_helperILb0EZZZNS0_12_GLOBAL__N_130modified_bessel_i0_kernel_cudaERNS_18TensorIteratorBaseEENKUlvE_clEvENKUlvE_clEvEUldE_NS0_6memory8policies10vectorizedILi4ESt5arrayIPcLm2EELi4EEEEEvT0_T1_.uses_vcc, .L_ZN2at6native25elementwise_kernel_helperILb0EZZZNS0_12_GLOBAL__N_130modified_bessel_i0_kernel_cudaERNS_18TensorIteratorBaseEENKUlvE_clEvENKUlvE_clEvEUldE_NS0_6memory8policies11unroll_baseILi256ESt5arrayIPcLm2EE23TrivialOffsetCalculatorILi1EjESF_NS8_15LoadWithoutCastENS8_16StoreWithoutCastELi4ELi1EEEEEvT0_T1_.uses_vcc)
	.set _ZN2at6native29vectorized_elementwise_kernelILi8EZZZNS0_12_GLOBAL__N_130modified_bessel_i0_kernel_cudaERNS_18TensorIteratorBaseEENKUlvE_clEvENKUlvE_clEvEUldE_St5arrayIPcLm2EEEEviT0_T1_.uses_flat_scratch, or(0, .L_ZN2at6native25elementwise_kernel_helperILb0EZZZNS0_12_GLOBAL__N_130modified_bessel_i0_kernel_cudaERNS_18TensorIteratorBaseEENKUlvE_clEvENKUlvE_clEvEUldE_NS0_6memory8policies10vectorizedILi4ESt5arrayIPcLm2EELi4EEEEEvT0_T1_.uses_flat_scratch, .L_ZN2at6native25elementwise_kernel_helperILb0EZZZNS0_12_GLOBAL__N_130modified_bessel_i0_kernel_cudaERNS_18TensorIteratorBaseEENKUlvE_clEvENKUlvE_clEvEUldE_NS0_6memory8policies11unroll_baseILi256ESt5arrayIPcLm2EE23TrivialOffsetCalculatorILi1EjESF_NS8_15LoadWithoutCastENS8_16StoreWithoutCastELi4ELi1EEEEEvT0_T1_.uses_flat_scratch)
	.set _ZN2at6native29vectorized_elementwise_kernelILi8EZZZNS0_12_GLOBAL__N_130modified_bessel_i0_kernel_cudaERNS_18TensorIteratorBaseEENKUlvE_clEvENKUlvE_clEvEUldE_St5arrayIPcLm2EEEEviT0_T1_.has_dyn_sized_stack, or(0, .L_ZN2at6native25elementwise_kernel_helperILb0EZZZNS0_12_GLOBAL__N_130modified_bessel_i0_kernel_cudaERNS_18TensorIteratorBaseEENKUlvE_clEvENKUlvE_clEvEUldE_NS0_6memory8policies10vectorizedILi4ESt5arrayIPcLm2EELi4EEEEEvT0_T1_.has_dyn_sized_stack, .L_ZN2at6native25elementwise_kernel_helperILb0EZZZNS0_12_GLOBAL__N_130modified_bessel_i0_kernel_cudaERNS_18TensorIteratorBaseEENKUlvE_clEvENKUlvE_clEvEUldE_NS0_6memory8policies11unroll_baseILi256ESt5arrayIPcLm2EE23TrivialOffsetCalculatorILi1EjESF_NS8_15LoadWithoutCastENS8_16StoreWithoutCastELi4ELi1EEEEEvT0_T1_.has_dyn_sized_stack)
	.set _ZN2at6native29vectorized_elementwise_kernelILi8EZZZNS0_12_GLOBAL__N_130modified_bessel_i0_kernel_cudaERNS_18TensorIteratorBaseEENKUlvE_clEvENKUlvE_clEvEUldE_St5arrayIPcLm2EEEEviT0_T1_.has_recursion, or(0, .L_ZN2at6native25elementwise_kernel_helperILb0EZZZNS0_12_GLOBAL__N_130modified_bessel_i0_kernel_cudaERNS_18TensorIteratorBaseEENKUlvE_clEvENKUlvE_clEvEUldE_NS0_6memory8policies10vectorizedILi4ESt5arrayIPcLm2EELi4EEEEEvT0_T1_.has_recursion, .L_ZN2at6native25elementwise_kernel_helperILb0EZZZNS0_12_GLOBAL__N_130modified_bessel_i0_kernel_cudaERNS_18TensorIteratorBaseEENKUlvE_clEvENKUlvE_clEvEUldE_NS0_6memory8policies11unroll_baseILi256ESt5arrayIPcLm2EE23TrivialOffsetCalculatorILi1EjESF_NS8_15LoadWithoutCastENS8_16StoreWithoutCastELi4ELi1EEEEEvT0_T1_.has_recursion)
	.set _ZN2at6native29vectorized_elementwise_kernelILi8EZZZNS0_12_GLOBAL__N_130modified_bessel_i0_kernel_cudaERNS_18TensorIteratorBaseEENKUlvE_clEvENKUlvE_clEvEUldE_St5arrayIPcLm2EEEEviT0_T1_.has_indirect_call, or(0, .L_ZN2at6native25elementwise_kernel_helperILb0EZZZNS0_12_GLOBAL__N_130modified_bessel_i0_kernel_cudaERNS_18TensorIteratorBaseEENKUlvE_clEvENKUlvE_clEvEUldE_NS0_6memory8policies10vectorizedILi4ESt5arrayIPcLm2EELi4EEEEEvT0_T1_.has_indirect_call, .L_ZN2at6native25elementwise_kernel_helperILb0EZZZNS0_12_GLOBAL__N_130modified_bessel_i0_kernel_cudaERNS_18TensorIteratorBaseEENKUlvE_clEvENKUlvE_clEvEUldE_NS0_6memory8policies11unroll_baseILi256ESt5arrayIPcLm2EE23TrivialOffsetCalculatorILi1EjESF_NS8_15LoadWithoutCastENS8_16StoreWithoutCastELi4ELi1EEEEEvT0_T1_.has_indirect_call)
	.section	.AMDGPU.csdata,"",@progbits
; Kernel info:
; codeLenInByte = 164
; TotalNumSgprs: 37
; NumVgprs: 32
; ScratchSize: 0
; MemoryBound: 0
; FloatMode: 240
; IeeeMode: 1
; LDSByteSize: 0 bytes/workgroup (compile time only)
; SGPRBlocks: 4
; VGPRBlocks: 7
; NumSGPRsForWavesPerEU: 37
; NumVGPRsForWavesPerEU: 32
; Occupancy: 8
; WaveLimiterHint : 0
; COMPUTE_PGM_RSRC2:SCRATCH_EN: 0
; COMPUTE_PGM_RSRC2:USER_SGPR: 6
; COMPUTE_PGM_RSRC2:TRAP_HANDLER: 0
; COMPUTE_PGM_RSRC2:TGID_X_EN: 1
; COMPUTE_PGM_RSRC2:TGID_Y_EN: 0
; COMPUTE_PGM_RSRC2:TGID_Z_EN: 0
; COMPUTE_PGM_RSRC2:TIDIG_COMP_CNT: 0
	.section	.text._ZN2at6native29vectorized_elementwise_kernelILi4EZZZNS0_12_GLOBAL__N_130modified_bessel_i0_kernel_cudaERNS_18TensorIteratorBaseEENKUlvE_clEvENKUlvE_clEvEUldE_St5arrayIPcLm2EEEEviT0_T1_,"axG",@progbits,_ZN2at6native29vectorized_elementwise_kernelILi4EZZZNS0_12_GLOBAL__N_130modified_bessel_i0_kernel_cudaERNS_18TensorIteratorBaseEENKUlvE_clEvENKUlvE_clEvEUldE_St5arrayIPcLm2EEEEviT0_T1_,comdat
	.globl	_ZN2at6native29vectorized_elementwise_kernelILi4EZZZNS0_12_GLOBAL__N_130modified_bessel_i0_kernel_cudaERNS_18TensorIteratorBaseEENKUlvE_clEvENKUlvE_clEvEUldE_St5arrayIPcLm2EEEEviT0_T1_ ; -- Begin function _ZN2at6native29vectorized_elementwise_kernelILi4EZZZNS0_12_GLOBAL__N_130modified_bessel_i0_kernel_cudaERNS_18TensorIteratorBaseEENKUlvE_clEvENKUlvE_clEvEUldE_St5arrayIPcLm2EEEEviT0_T1_
	.p2align	8
	.type	_ZN2at6native29vectorized_elementwise_kernelILi4EZZZNS0_12_GLOBAL__N_130modified_bessel_i0_kernel_cudaERNS_18TensorIteratorBaseEENKUlvE_clEvENKUlvE_clEvEUldE_St5arrayIPcLm2EEEEviT0_T1_,@function
_ZN2at6native29vectorized_elementwise_kernelILi4EZZZNS0_12_GLOBAL__N_130modified_bessel_i0_kernel_cudaERNS_18TensorIteratorBaseEENKUlvE_clEvENKUlvE_clEvEUldE_St5arrayIPcLm2EEEEviT0_T1_: ; @_ZN2at6native29vectorized_elementwise_kernelILi4EZZZNS0_12_GLOBAL__N_130modified_bessel_i0_kernel_cudaERNS_18TensorIteratorBaseEENKUlvE_clEvENKUlvE_clEvEUldE_St5arrayIPcLm2EEEEviT0_T1_
; %bb.0:
	s_mov_b32 s12, s6
	s_load_dword s6, s[4:5], 0x0
	s_load_dwordx4 s[16:19], s[4:5], 0x8
	s_add_u32 s0, s0, s7
	s_addc_u32 s1, s1, 0
	s_lshl_b32 s4, s12, 10
	s_waitcnt lgkmcnt(0)
	s_sub_i32 s13, s6, s4
	v_mov_b32_e32 v31, v0
	s_cmpk_gt_i32 s13, 0x3ff
	s_mov_b64 s[4:5], -1
	s_mov_b32 s32, 0
	s_cbranch_scc1 .LBB4_3
; %bb.1:
	s_andn2_b64 vcc, exec, s[4:5]
	s_cbranch_vccz .LBB4_4
.LBB4_2:
	s_endpgm
.LBB4_3:
	s_getpc_b64 s[4:5]
	s_add_u32 s4, s4, _ZN2at6native25elementwise_kernel_helperILb0EZZZNS0_12_GLOBAL__N_130modified_bessel_i0_kernel_cudaERNS_18TensorIteratorBaseEENKUlvE_clEvENKUlvE_clEvEUldE_NS0_6memory8policies10vectorizedILi4ESt5arrayIPcLm2EELi4EEEEEvT0_T1_@rel32@lo+4
	s_addc_u32 s5, s5, _ZN2at6native25elementwise_kernel_helperILb0EZZZNS0_12_GLOBAL__N_130modified_bessel_i0_kernel_cudaERNS_18TensorIteratorBaseEENKUlvE_clEvENKUlvE_clEvEUldE_NS0_6memory8policies10vectorizedILi4ESt5arrayIPcLm2EELi4EEEEEvT0_T1_@rel32@hi+12
	v_mov_b32_e32 v0, s16
	v_mov_b32_e32 v1, s17
	v_mov_b32_e32 v2, s18
	v_mov_b32_e32 v3, s19
	s_swappc_b64 s[30:31], s[4:5]
	s_cbranch_execnz .LBB4_2
.LBB4_4:
	s_getpc_b64 s[4:5]
	s_add_u32 s4, s4, _ZN2at6native25elementwise_kernel_helperILb0EZZZNS0_12_GLOBAL__N_130modified_bessel_i0_kernel_cudaERNS_18TensorIteratorBaseEENKUlvE_clEvENKUlvE_clEvEUldE_NS0_6memory8policies11unroll_baseILi256ESt5arrayIPcLm2EE23TrivialOffsetCalculatorILi1EjESF_NS8_15LoadWithoutCastENS8_16StoreWithoutCastELi4ELi1EEEEEvT0_T1_@rel32@lo+4
	s_addc_u32 s5, s5, _ZN2at6native25elementwise_kernel_helperILb0EZZZNS0_12_GLOBAL__N_130modified_bessel_i0_kernel_cudaERNS_18TensorIteratorBaseEENKUlvE_clEvENKUlvE_clEvEUldE_NS0_6memory8policies11unroll_baseILi256ESt5arrayIPcLm2EE23TrivialOffsetCalculatorILi1EjESF_NS8_15LoadWithoutCastENS8_16StoreWithoutCastELi4ELi1EEEEEvT0_T1_@rel32@hi+12
	v_mov_b32_e32 v0, s16
	v_mov_b32_e32 v1, s17
	;; [unrolled: 1-line block ×5, first 2 shown]
	s_swappc_b64 s[30:31], s[4:5]
	s_endpgm
	.section	.rodata,"a",@progbits
	.p2align	6, 0x0
	.amdhsa_kernel _ZN2at6native29vectorized_elementwise_kernelILi4EZZZNS0_12_GLOBAL__N_130modified_bessel_i0_kernel_cudaERNS_18TensorIteratorBaseEENKUlvE_clEvENKUlvE_clEvEUldE_St5arrayIPcLm2EEEEviT0_T1_
		.amdhsa_group_segment_fixed_size 0
		.amdhsa_private_segment_fixed_size 0
		.amdhsa_kernarg_size 24
		.amdhsa_user_sgpr_count 6
		.amdhsa_user_sgpr_private_segment_buffer 1
		.amdhsa_user_sgpr_dispatch_ptr 0
		.amdhsa_user_sgpr_queue_ptr 0
		.amdhsa_user_sgpr_kernarg_segment_ptr 1
		.amdhsa_user_sgpr_dispatch_id 0
		.amdhsa_user_sgpr_flat_scratch_init 0
		.amdhsa_user_sgpr_private_segment_size 0
		.amdhsa_uses_dynamic_stack 0
		.amdhsa_system_sgpr_private_segment_wavefront_offset 0
		.amdhsa_system_sgpr_workgroup_id_x 1
		.amdhsa_system_sgpr_workgroup_id_y 0
		.amdhsa_system_sgpr_workgroup_id_z 0
		.amdhsa_system_sgpr_workgroup_info 0
		.amdhsa_system_vgpr_workitem_id 0
		.amdhsa_next_free_vgpr 32
		.amdhsa_next_free_sgpr 33
		.amdhsa_reserve_vcc 1
		.amdhsa_reserve_flat_scratch 0
		.amdhsa_float_round_mode_32 0
		.amdhsa_float_round_mode_16_64 0
		.amdhsa_float_denorm_mode_32 3
		.amdhsa_float_denorm_mode_16_64 3
		.amdhsa_dx10_clamp 1
		.amdhsa_ieee_mode 1
		.amdhsa_fp16_overflow 0
		.amdhsa_exception_fp_ieee_invalid_op 0
		.amdhsa_exception_fp_denorm_src 0
		.amdhsa_exception_fp_ieee_div_zero 0
		.amdhsa_exception_fp_ieee_overflow 0
		.amdhsa_exception_fp_ieee_underflow 0
		.amdhsa_exception_fp_ieee_inexact 0
		.amdhsa_exception_int_div_zero 0
	.end_amdhsa_kernel
	.section	.text._ZN2at6native29vectorized_elementwise_kernelILi4EZZZNS0_12_GLOBAL__N_130modified_bessel_i0_kernel_cudaERNS_18TensorIteratorBaseEENKUlvE_clEvENKUlvE_clEvEUldE_St5arrayIPcLm2EEEEviT0_T1_,"axG",@progbits,_ZN2at6native29vectorized_elementwise_kernelILi4EZZZNS0_12_GLOBAL__N_130modified_bessel_i0_kernel_cudaERNS_18TensorIteratorBaseEENKUlvE_clEvENKUlvE_clEvEUldE_St5arrayIPcLm2EEEEviT0_T1_,comdat
.Lfunc_end4:
	.size	_ZN2at6native29vectorized_elementwise_kernelILi4EZZZNS0_12_GLOBAL__N_130modified_bessel_i0_kernel_cudaERNS_18TensorIteratorBaseEENKUlvE_clEvENKUlvE_clEvEUldE_St5arrayIPcLm2EEEEviT0_T1_, .Lfunc_end4-_ZN2at6native29vectorized_elementwise_kernelILi4EZZZNS0_12_GLOBAL__N_130modified_bessel_i0_kernel_cudaERNS_18TensorIteratorBaseEENKUlvE_clEvENKUlvE_clEvEUldE_St5arrayIPcLm2EEEEviT0_T1_
                                        ; -- End function
	.set _ZN2at6native29vectorized_elementwise_kernelILi4EZZZNS0_12_GLOBAL__N_130modified_bessel_i0_kernel_cudaERNS_18TensorIteratorBaseEENKUlvE_clEvENKUlvE_clEvEUldE_St5arrayIPcLm2EEEEviT0_T1_.num_vgpr, max(32, .L_ZN2at6native25elementwise_kernel_helperILb0EZZZNS0_12_GLOBAL__N_130modified_bessel_i0_kernel_cudaERNS_18TensorIteratorBaseEENKUlvE_clEvENKUlvE_clEvEUldE_NS0_6memory8policies10vectorizedILi4ESt5arrayIPcLm2EELi4EEEEEvT0_T1_.num_vgpr, .L_ZN2at6native25elementwise_kernel_helperILb0EZZZNS0_12_GLOBAL__N_130modified_bessel_i0_kernel_cudaERNS_18TensorIteratorBaseEENKUlvE_clEvENKUlvE_clEvEUldE_NS0_6memory8policies11unroll_baseILi256ESt5arrayIPcLm2EE23TrivialOffsetCalculatorILi1EjESF_NS8_15LoadWithoutCastENS8_16StoreWithoutCastELi4ELi1EEEEEvT0_T1_.num_vgpr)
	.set _ZN2at6native29vectorized_elementwise_kernelILi4EZZZNS0_12_GLOBAL__N_130modified_bessel_i0_kernel_cudaERNS_18TensorIteratorBaseEENKUlvE_clEvENKUlvE_clEvEUldE_St5arrayIPcLm2EEEEviT0_T1_.num_agpr, max(0, .L_ZN2at6native25elementwise_kernel_helperILb0EZZZNS0_12_GLOBAL__N_130modified_bessel_i0_kernel_cudaERNS_18TensorIteratorBaseEENKUlvE_clEvENKUlvE_clEvEUldE_NS0_6memory8policies10vectorizedILi4ESt5arrayIPcLm2EELi4EEEEEvT0_T1_.num_agpr, .L_ZN2at6native25elementwise_kernel_helperILb0EZZZNS0_12_GLOBAL__N_130modified_bessel_i0_kernel_cudaERNS_18TensorIteratorBaseEENKUlvE_clEvENKUlvE_clEvEUldE_NS0_6memory8policies11unroll_baseILi256ESt5arrayIPcLm2EE23TrivialOffsetCalculatorILi1EjESF_NS8_15LoadWithoutCastENS8_16StoreWithoutCastELi4ELi1EEEEEvT0_T1_.num_agpr)
	.set _ZN2at6native29vectorized_elementwise_kernelILi4EZZZNS0_12_GLOBAL__N_130modified_bessel_i0_kernel_cudaERNS_18TensorIteratorBaseEENKUlvE_clEvENKUlvE_clEvEUldE_St5arrayIPcLm2EEEEviT0_T1_.numbered_sgpr, max(33, .L_ZN2at6native25elementwise_kernel_helperILb0EZZZNS0_12_GLOBAL__N_130modified_bessel_i0_kernel_cudaERNS_18TensorIteratorBaseEENKUlvE_clEvENKUlvE_clEvEUldE_NS0_6memory8policies10vectorizedILi4ESt5arrayIPcLm2EELi4EEEEEvT0_T1_.numbered_sgpr, .L_ZN2at6native25elementwise_kernel_helperILb0EZZZNS0_12_GLOBAL__N_130modified_bessel_i0_kernel_cudaERNS_18TensorIteratorBaseEENKUlvE_clEvENKUlvE_clEvEUldE_NS0_6memory8policies11unroll_baseILi256ESt5arrayIPcLm2EE23TrivialOffsetCalculatorILi1EjESF_NS8_15LoadWithoutCastENS8_16StoreWithoutCastELi4ELi1EEEEEvT0_T1_.numbered_sgpr)
	.set _ZN2at6native29vectorized_elementwise_kernelILi4EZZZNS0_12_GLOBAL__N_130modified_bessel_i0_kernel_cudaERNS_18TensorIteratorBaseEENKUlvE_clEvENKUlvE_clEvEUldE_St5arrayIPcLm2EEEEviT0_T1_.num_named_barrier, max(0, .L_ZN2at6native25elementwise_kernel_helperILb0EZZZNS0_12_GLOBAL__N_130modified_bessel_i0_kernel_cudaERNS_18TensorIteratorBaseEENKUlvE_clEvENKUlvE_clEvEUldE_NS0_6memory8policies10vectorizedILi4ESt5arrayIPcLm2EELi4EEEEEvT0_T1_.num_named_barrier, .L_ZN2at6native25elementwise_kernel_helperILb0EZZZNS0_12_GLOBAL__N_130modified_bessel_i0_kernel_cudaERNS_18TensorIteratorBaseEENKUlvE_clEvENKUlvE_clEvEUldE_NS0_6memory8policies11unroll_baseILi256ESt5arrayIPcLm2EE23TrivialOffsetCalculatorILi1EjESF_NS8_15LoadWithoutCastENS8_16StoreWithoutCastELi4ELi1EEEEEvT0_T1_.num_named_barrier)
	.set _ZN2at6native29vectorized_elementwise_kernelILi4EZZZNS0_12_GLOBAL__N_130modified_bessel_i0_kernel_cudaERNS_18TensorIteratorBaseEENKUlvE_clEvENKUlvE_clEvEUldE_St5arrayIPcLm2EEEEviT0_T1_.private_seg_size, 0+max(.L_ZN2at6native25elementwise_kernel_helperILb0EZZZNS0_12_GLOBAL__N_130modified_bessel_i0_kernel_cudaERNS_18TensorIteratorBaseEENKUlvE_clEvENKUlvE_clEvEUldE_NS0_6memory8policies10vectorizedILi4ESt5arrayIPcLm2EELi4EEEEEvT0_T1_.private_seg_size, .L_ZN2at6native25elementwise_kernel_helperILb0EZZZNS0_12_GLOBAL__N_130modified_bessel_i0_kernel_cudaERNS_18TensorIteratorBaseEENKUlvE_clEvENKUlvE_clEvEUldE_NS0_6memory8policies11unroll_baseILi256ESt5arrayIPcLm2EE23TrivialOffsetCalculatorILi1EjESF_NS8_15LoadWithoutCastENS8_16StoreWithoutCastELi4ELi1EEEEEvT0_T1_.private_seg_size)
	.set _ZN2at6native29vectorized_elementwise_kernelILi4EZZZNS0_12_GLOBAL__N_130modified_bessel_i0_kernel_cudaERNS_18TensorIteratorBaseEENKUlvE_clEvENKUlvE_clEvEUldE_St5arrayIPcLm2EEEEviT0_T1_.uses_vcc, or(1, .L_ZN2at6native25elementwise_kernel_helperILb0EZZZNS0_12_GLOBAL__N_130modified_bessel_i0_kernel_cudaERNS_18TensorIteratorBaseEENKUlvE_clEvENKUlvE_clEvEUldE_NS0_6memory8policies10vectorizedILi4ESt5arrayIPcLm2EELi4EEEEEvT0_T1_.uses_vcc, .L_ZN2at6native25elementwise_kernel_helperILb0EZZZNS0_12_GLOBAL__N_130modified_bessel_i0_kernel_cudaERNS_18TensorIteratorBaseEENKUlvE_clEvENKUlvE_clEvEUldE_NS0_6memory8policies11unroll_baseILi256ESt5arrayIPcLm2EE23TrivialOffsetCalculatorILi1EjESF_NS8_15LoadWithoutCastENS8_16StoreWithoutCastELi4ELi1EEEEEvT0_T1_.uses_vcc)
	.set _ZN2at6native29vectorized_elementwise_kernelILi4EZZZNS0_12_GLOBAL__N_130modified_bessel_i0_kernel_cudaERNS_18TensorIteratorBaseEENKUlvE_clEvENKUlvE_clEvEUldE_St5arrayIPcLm2EEEEviT0_T1_.uses_flat_scratch, or(0, .L_ZN2at6native25elementwise_kernel_helperILb0EZZZNS0_12_GLOBAL__N_130modified_bessel_i0_kernel_cudaERNS_18TensorIteratorBaseEENKUlvE_clEvENKUlvE_clEvEUldE_NS0_6memory8policies10vectorizedILi4ESt5arrayIPcLm2EELi4EEEEEvT0_T1_.uses_flat_scratch, .L_ZN2at6native25elementwise_kernel_helperILb0EZZZNS0_12_GLOBAL__N_130modified_bessel_i0_kernel_cudaERNS_18TensorIteratorBaseEENKUlvE_clEvENKUlvE_clEvEUldE_NS0_6memory8policies11unroll_baseILi256ESt5arrayIPcLm2EE23TrivialOffsetCalculatorILi1EjESF_NS8_15LoadWithoutCastENS8_16StoreWithoutCastELi4ELi1EEEEEvT0_T1_.uses_flat_scratch)
	.set _ZN2at6native29vectorized_elementwise_kernelILi4EZZZNS0_12_GLOBAL__N_130modified_bessel_i0_kernel_cudaERNS_18TensorIteratorBaseEENKUlvE_clEvENKUlvE_clEvEUldE_St5arrayIPcLm2EEEEviT0_T1_.has_dyn_sized_stack, or(0, .L_ZN2at6native25elementwise_kernel_helperILb0EZZZNS0_12_GLOBAL__N_130modified_bessel_i0_kernel_cudaERNS_18TensorIteratorBaseEENKUlvE_clEvENKUlvE_clEvEUldE_NS0_6memory8policies10vectorizedILi4ESt5arrayIPcLm2EELi4EEEEEvT0_T1_.has_dyn_sized_stack, .L_ZN2at6native25elementwise_kernel_helperILb0EZZZNS0_12_GLOBAL__N_130modified_bessel_i0_kernel_cudaERNS_18TensorIteratorBaseEENKUlvE_clEvENKUlvE_clEvEUldE_NS0_6memory8policies11unroll_baseILi256ESt5arrayIPcLm2EE23TrivialOffsetCalculatorILi1EjESF_NS8_15LoadWithoutCastENS8_16StoreWithoutCastELi4ELi1EEEEEvT0_T1_.has_dyn_sized_stack)
	.set _ZN2at6native29vectorized_elementwise_kernelILi4EZZZNS0_12_GLOBAL__N_130modified_bessel_i0_kernel_cudaERNS_18TensorIteratorBaseEENKUlvE_clEvENKUlvE_clEvEUldE_St5arrayIPcLm2EEEEviT0_T1_.has_recursion, or(0, .L_ZN2at6native25elementwise_kernel_helperILb0EZZZNS0_12_GLOBAL__N_130modified_bessel_i0_kernel_cudaERNS_18TensorIteratorBaseEENKUlvE_clEvENKUlvE_clEvEUldE_NS0_6memory8policies10vectorizedILi4ESt5arrayIPcLm2EELi4EEEEEvT0_T1_.has_recursion, .L_ZN2at6native25elementwise_kernel_helperILb0EZZZNS0_12_GLOBAL__N_130modified_bessel_i0_kernel_cudaERNS_18TensorIteratorBaseEENKUlvE_clEvENKUlvE_clEvEUldE_NS0_6memory8policies11unroll_baseILi256ESt5arrayIPcLm2EE23TrivialOffsetCalculatorILi1EjESF_NS8_15LoadWithoutCastENS8_16StoreWithoutCastELi4ELi1EEEEEvT0_T1_.has_recursion)
	.set _ZN2at6native29vectorized_elementwise_kernelILi4EZZZNS0_12_GLOBAL__N_130modified_bessel_i0_kernel_cudaERNS_18TensorIteratorBaseEENKUlvE_clEvENKUlvE_clEvEUldE_St5arrayIPcLm2EEEEviT0_T1_.has_indirect_call, or(0, .L_ZN2at6native25elementwise_kernel_helperILb0EZZZNS0_12_GLOBAL__N_130modified_bessel_i0_kernel_cudaERNS_18TensorIteratorBaseEENKUlvE_clEvENKUlvE_clEvEUldE_NS0_6memory8policies10vectorizedILi4ESt5arrayIPcLm2EELi4EEEEEvT0_T1_.has_indirect_call, .L_ZN2at6native25elementwise_kernel_helperILb0EZZZNS0_12_GLOBAL__N_130modified_bessel_i0_kernel_cudaERNS_18TensorIteratorBaseEENKUlvE_clEvENKUlvE_clEvEUldE_NS0_6memory8policies11unroll_baseILi256ESt5arrayIPcLm2EE23TrivialOffsetCalculatorILi1EjESF_NS8_15LoadWithoutCastENS8_16StoreWithoutCastELi4ELi1EEEEEvT0_T1_.has_indirect_call)
	.section	.AMDGPU.csdata,"",@progbits
; Kernel info:
; codeLenInByte = 164
; TotalNumSgprs: 37
; NumVgprs: 32
; ScratchSize: 0
; MemoryBound: 0
; FloatMode: 240
; IeeeMode: 1
; LDSByteSize: 0 bytes/workgroup (compile time only)
; SGPRBlocks: 4
; VGPRBlocks: 7
; NumSGPRsForWavesPerEU: 37
; NumVGPRsForWavesPerEU: 32
; Occupancy: 8
; WaveLimiterHint : 0
; COMPUTE_PGM_RSRC2:SCRATCH_EN: 0
; COMPUTE_PGM_RSRC2:USER_SGPR: 6
; COMPUTE_PGM_RSRC2:TRAP_HANDLER: 0
; COMPUTE_PGM_RSRC2:TGID_X_EN: 1
; COMPUTE_PGM_RSRC2:TGID_Y_EN: 0
; COMPUTE_PGM_RSRC2:TGID_Z_EN: 0
; COMPUTE_PGM_RSRC2:TIDIG_COMP_CNT: 0
	.section	.text._ZN2at6native29vectorized_elementwise_kernelILi2EZZZNS0_12_GLOBAL__N_130modified_bessel_i0_kernel_cudaERNS_18TensorIteratorBaseEENKUlvE_clEvENKUlvE_clEvEUldE_St5arrayIPcLm2EEEEviT0_T1_,"axG",@progbits,_ZN2at6native29vectorized_elementwise_kernelILi2EZZZNS0_12_GLOBAL__N_130modified_bessel_i0_kernel_cudaERNS_18TensorIteratorBaseEENKUlvE_clEvENKUlvE_clEvEUldE_St5arrayIPcLm2EEEEviT0_T1_,comdat
	.globl	_ZN2at6native29vectorized_elementwise_kernelILi2EZZZNS0_12_GLOBAL__N_130modified_bessel_i0_kernel_cudaERNS_18TensorIteratorBaseEENKUlvE_clEvENKUlvE_clEvEUldE_St5arrayIPcLm2EEEEviT0_T1_ ; -- Begin function _ZN2at6native29vectorized_elementwise_kernelILi2EZZZNS0_12_GLOBAL__N_130modified_bessel_i0_kernel_cudaERNS_18TensorIteratorBaseEENKUlvE_clEvENKUlvE_clEvEUldE_St5arrayIPcLm2EEEEviT0_T1_
	.p2align	8
	.type	_ZN2at6native29vectorized_elementwise_kernelILi2EZZZNS0_12_GLOBAL__N_130modified_bessel_i0_kernel_cudaERNS_18TensorIteratorBaseEENKUlvE_clEvENKUlvE_clEvEUldE_St5arrayIPcLm2EEEEviT0_T1_,@function
_ZN2at6native29vectorized_elementwise_kernelILi2EZZZNS0_12_GLOBAL__N_130modified_bessel_i0_kernel_cudaERNS_18TensorIteratorBaseEENKUlvE_clEvENKUlvE_clEvEUldE_St5arrayIPcLm2EEEEviT0_T1_: ; @_ZN2at6native29vectorized_elementwise_kernelILi2EZZZNS0_12_GLOBAL__N_130modified_bessel_i0_kernel_cudaERNS_18TensorIteratorBaseEENKUlvE_clEvENKUlvE_clEvEUldE_St5arrayIPcLm2EEEEviT0_T1_
; %bb.0:
	s_add_u32 s0, s0, s7
	s_load_dword s7, s[4:5], 0x0
	s_load_dwordx4 s[8:11], s[4:5], 0x8
	s_addc_u32 s1, s1, 0
	s_lshl_b32 s4, s6, 10
	s_mov_b64 s[12:13], -1
	s_waitcnt lgkmcnt(0)
	s_sub_i32 s7, s7, s4
	s_cmpk_gt_i32 s7, 0x3ff
	s_mov_b32 s32, 0
	s_cbranch_scc1 .LBB5_3
; %bb.1:
	s_and_b64 vcc, exec, s[12:13]
	s_cbranch_vccnz .LBB5_20
.LBB5_2:
	s_endpgm
.LBB5_3:
	s_ashr_i32 s5, s4, 31
	s_lshl_b64 s[12:13], s[4:5], 3
	s_add_u32 s4, s10, s12
	s_addc_u32 s5, s11, s13
	v_lshlrev_b32_e32 v13, 4, v0
	global_load_dwordx4 v[7:10], v13, s[4:5]
	v_mov_b32_e32 v1, s5
	v_add_co_u32_e32 v2, vcc, s4, v13
	v_addc_co_u32_e32 v3, vcc, 0, v1, vcc
	v_add_co_u32_e32 v1, vcc, 0x1000, v2
	v_addc_co_u32_e32 v2, vcc, 0, v3, vcc
	global_load_dwordx4 v[1:4], v[1:2], off
	s_mov_b32 s4, 0
	s_mov_b32 s5, 0x40200000
                                        ; implicit-def: $vgpr5_vgpr6
	s_waitcnt vmcnt(1)
	v_cmp_le_f64_e64 s[4:5], |v[7:8]|, s[4:5]
	s_and_saveexec_b64 s[14:15], s[4:5]
	s_xor_b64 s[4:5], exec, s[14:15]
	s_cbranch_execz .LBB5_5
; %bb.4:
	v_fma_f64 v[5:6], |v[7:8]|, 0.5, -2.0
	v_mov_b32_e32 v11, 0x977da589
	v_mov_b32_e32 v12, 0x3c833362
	s_mov_b32 s15, 0xbc545cb7
	s_mov_b32 s14, 0x2134d0ef
	;; [unrolled: 1-line block ×4, first 2 shown]
	v_mov_b32_e32 v18, 0xfca7ab0c
	v_fma_f64 v[11:12], v[5:6], s[14:15], v[11:12]
	s_mov_b32 s15, 0x3c545cb7
	v_mov_b32_e32 v19, 0x3e928af3
	v_fma_f64 v[14:15], v[5:6], v[11:12], s[14:15]
	s_mov_b32 s14, 0x721ebbb4
	s_mov_b32 s15, 0xbcb184eb
	v_add_f64 v[14:15], v[14:15], s[14:15]
	s_mov_b32 s14, 0x93f65eba
	s_mov_b32 s15, 0x3cdee6d8
	v_fma_f64 v[11:12], v[5:6], v[14:15], -v[11:12]
	v_add_f64 v[11:12], v[11:12], s[14:15]
	s_mov_b32 s14, 0xc297fbeb
	s_mov_b32 s15, 0xbd0a5022
	v_fma_f64 v[14:15], v[5:6], v[11:12], -v[14:15]
	;; [unrolled: 4-line block ×20, first 2 shown]
	v_add_f64 v[14:15], v[14:15], s[14:15]
	s_mov_b32 s14, 0x652b82fe
	s_mov_b32 s15, 0x3ff71547
	v_mul_f64 v[16:17], |v[7:8]|, s[14:15]
	s_mov_b32 s14, 0xf3dde3dd
	s_mov_b32 s15, 0x3f859961
	v_fma_f64 v[11:12], v[5:6], v[14:15], -v[11:12]
	v_rndne_f64_e32 v[16:17], v[16:17]
	v_add_f64 v[11:12], v[11:12], s[14:15]
	s_mov_b32 s14, 0xfefa39ef
	s_mov_b32 s15, 0xbfe62e42
	v_fma_f64 v[7:8], v[16:17], s[14:15], |v[7:8]|
	s_mov_b32 s14, 0xf121b6f0
	s_mov_b32 s15, 0xbf984e9e
	v_fma_f64 v[14:15], v[5:6], v[11:12], -v[14:15]
	v_fma_f64 v[7:8], v[16:17], s[16:17], v[7:8]
	s_mov_b32 s16, 0x623fde64
	s_mov_b32 s17, 0x3ec71dee
	v_add_f64 v[14:15], v[14:15], s[14:15]
	s_mov_b32 s14, 0x6a5dcb37
	s_mov_b32 s15, 0x3e5ade15
	v_fma_f64 v[18:19], v[7:8], s[14:15], v[18:19]
	s_mov_b32 s14, 0xcea8a32d
	s_mov_b32 s15, 0x3fa93e8a
	v_fma_f64 v[11:12], v[5:6], v[14:15], -v[11:12]
	v_fma_f64 v[18:19], v[7:8], v[18:19], s[16:17]
	s_mov_b32 s16, 0x14761f6e
	s_mov_b32 s17, 0x3f2a01a0
	v_add_f64 v[11:12], v[11:12], s[14:15]
	s_mov_b32 s14, 0x7c89e6b0
	s_mov_b32 s15, 0x3efa0199
	v_fma_f64 v[18:19], v[7:8], v[18:19], s[14:15]
	;; [unrolled: 10-line block ×4, first 2 shown]
	s_mov_b32 s14, 0xc057cd8d
	s_mov_b32 s15, 0xbfd37feb
	v_fma_f64 v[14:15], v[5:6], v[11:12], -v[14:15]
	v_fma_f64 v[18:19], v[7:8], v[18:19], s[16:17]
	v_add_f64 v[14:15], v[14:15], s[14:15]
	s_mov_b32 s14, 11
	s_mov_b32 s15, 0x3fe00000
	v_fma_f64 v[18:19], v[7:8], v[18:19], s[14:15]
	s_mov_b32 s14, 0x9035a22a
	s_mov_b32 s15, 0x3fe5a84e
	v_fma_f64 v[5:6], v[5:6], v[14:15], -v[11:12]
	v_fma_f64 v[14:15], v[7:8], v[18:19], 1.0
	v_add_f64 v[5:6], v[5:6], s[14:15]
	v_fma_f64 v[7:8], v[7:8], v[14:15], 1.0
	v_add_f64 v[5:6], v[5:6], -v[11:12]
	v_cvt_i32_f64_e32 v11, v[16:17]
	v_ldexp_f64 v[7:8], v[7:8], v11
	v_mul_f64 v[5:6], v[5:6], 0.5
	v_mul_f64 v[5:6], v[7:8], v[5:6]
.LBB5_5:
	s_andn2_saveexec_b64 s[14:15], s[4:5]
	s_cbranch_execz .LBB5_7
; %bb.6:
	s_mov_b32 s4, 0
	v_and_b32_e32 v6, 0x7fffffff, v8
	v_mov_b32_e32 v5, v7
	s_mov_b32 s5, 0x40400000
	v_div_scale_f64 v[11:12], s[16:17], v[5:6], v[5:6], s[4:5]
	v_div_scale_f64 v[5:6], vcc, s[4:5], v[5:6], s[4:5]
	s_mov_b32 s16, 0x3b39803f
	s_mov_b32 s17, 0xbc7abc9e
	v_mov_b32_e32 v20, 0xfca7ab0c
	v_mov_b32_e32 v21, 0x3e928af3
	s_mov_b32 s18, 0x623fde64
	s_mov_b32 s19, 0x3ec71dee
	v_mov_b32_e32 v22, 0x100
	v_rcp_f64_e32 v[14:15], v[11:12]
	v_fma_f64 v[16:17], -v[11:12], v[14:15], 1.0
	v_fma_f64 v[14:15], v[14:15], v[16:17], v[14:15]
	v_fma_f64 v[16:17], -v[11:12], v[14:15], 1.0
	v_fma_f64 v[14:15], v[14:15], v[16:17], v[14:15]
	v_mul_f64 v[16:17], v[5:6], v[14:15]
	v_fma_f64 v[5:6], -v[11:12], v[16:17], v[5:6]
	v_mov_b32_e32 v11, 0x66119130
	v_mov_b32_e32 v12, 0xbc5646da
	v_div_fmas_f64 v[5:6], v[5:6], v[14:15], v[16:17]
	v_div_fixup_f64 v[5:6], v[5:6], |v[7:8]|, s[4:5]
	s_mov_b32 s5, 0xbc60adb7
	s_mov_b32 s4, 0x54ca8b19
	v_add_f64 v[5:6], v[5:6], -2.0
	v_fma_f64 v[11:12], v[5:6], s[4:5], v[11:12]
	s_mov_b32 s5, 0x3c60adb7
	v_fma_f64 v[14:15], v[5:6], v[11:12], s[4:5]
	s_mov_b32 s4, 0x12d98421
	s_mov_b32 s5, 0x3c89be18
	v_add_f64 v[14:15], v[14:15], s[4:5]
	s_mov_b32 s4, 0x76041cd
	s_mov_b32 s5, 0x3c83f3dd
	v_fma_f64 v[11:12], v[5:6], v[14:15], -v[11:12]
	v_add_f64 v[11:12], v[11:12], s[4:5]
	s_mov_b32 s4, 0xabd21fe4
	s_mov_b32 s5, 0xbcb4600b
	v_fma_f64 v[14:15], v[5:6], v[11:12], -v[14:15]
	;; [unrolled: 4-line block ×15, first 2 shown]
	v_add_f64 v[11:12], v[11:12], s[4:5]
	s_mov_b32 s4, 0x652b82fe
	s_mov_b32 s5, 0x3ff71547
	v_mul_f64 v[16:17], |v[7:8]|, s[4:5]
	s_mov_b32 s4, 0xa9225b87
	s_mov_b32 s5, 0x3e2d2c64
	v_fma_f64 v[14:15], v[5:6], v[11:12], -v[14:15]
	v_rndne_f64_e32 v[16:17], v[16:17]
	v_add_f64 v[14:15], v[14:15], s[4:5]
	s_mov_b32 s4, 0xfefa39ef
	s_mov_b32 s5, 0xbfe62e42
	v_fma_f64 v[18:19], v[16:17], s[4:5], |v[7:8]|
	s_mov_b32 s4, 0x80d6d56d
	s_mov_b32 s5, 0x3e585692
	v_fma_f64 v[11:12], v[5:6], v[14:15], -v[11:12]
	v_fma_f64 v[18:19], v[16:17], s[16:17], v[18:19]
	s_mov_b32 s16, 0xd9cd616e
	s_mov_b32 s17, 0x3e8b8007
	v_add_f64 v[11:12], v[11:12], s[4:5]
	s_mov_b32 s4, 0x6a5dcb37
	s_mov_b32 s5, 0x3e5ade15
	v_fma_f64 v[20:21], v[18:19], s[4:5], v[20:21]
	s_mov_b32 s4, 0
	s_brev_b32 s5, 8
	v_cmp_lt_f64_e64 vcc, |v[7:8]|, s[4:5]
	s_mov_b32 s4, 0x7c89e6b0
	v_fma_f64 v[14:15], v[5:6], v[11:12], -v[14:15]
	s_mov_b32 s5, 0x3efa0199
	v_fma_f64 v[20:21], v[18:19], v[20:21], s[18:19]
	v_cndmask_b32_e32 v22, 0, v22, vcc
	v_ldexp_f64 v[22:23], |v[7:8]|, v22
	v_add_f64 v[14:15], v[14:15], s[16:17]
	s_mov_b32 s16, 0x14761f6e
	s_mov_b32 s17, 0x3f2a01a0
	v_fma_f64 v[20:21], v[18:19], v[20:21], s[4:5]
	s_mov_b32 s4, 0xc101c586
	s_mov_b32 s5, 0x3ec8412b
	v_rsq_f64_e32 v[24:25], v[22:23]
	v_fma_f64 v[11:12], v[5:6], v[14:15], -v[11:12]
	v_fma_f64 v[20:21], v[18:19], v[20:21], s[16:17]
	s_mov_b32 s16, 0x11122322
	s_mov_b32 s17, 0x3f811111
	v_add_f64 v[11:12], v[11:12], s[4:5]
	s_mov_b32 s4, 0x1852b7b0
	s_mov_b32 s5, 0x3f56c16c
	v_fma_f64 v[20:21], v[18:19], v[20:21], s[4:5]
	s_mov_b32 s4, 0x78999e52
	s_mov_b32 s5, 0x3f120fa3
	v_mul_f64 v[26:27], v[22:23], v[24:25]
	v_fma_f64 v[14:15], v[5:6], v[11:12], -v[14:15]
	v_mul_f64 v[24:25], v[24:25], 0.5
	v_fma_f64 v[20:21], v[18:19], v[20:21], s[16:17]
	s_mov_b32 s16, 0x55555511
	s_mov_b32 s17, 0x3fc55555
	v_add_f64 v[14:15], v[14:15], s[4:5]
	s_mov_b32 s4, 0x555502a1
	s_mov_b32 s5, 0x3fa55555
	v_fma_f64 v[28:29], -v[24:25], v[26:27], 0.5
	v_fma_f64 v[20:21], v[18:19], v[20:21], s[4:5]
	s_mov_b32 s4, 0xa2e59049
	s_mov_b32 s5, 0x3f6b998c
	v_fma_f64 v[11:12], v[5:6], v[14:15], -v[11:12]
	v_fma_f64 v[26:27], v[26:27], v[28:29], v[26:27]
	v_fma_f64 v[20:21], v[18:19], v[20:21], s[16:17]
	;; [unrolled: 1-line block ×3, first 2 shown]
	v_add_f64 v[11:12], v[11:12], s[4:5]
	s_mov_b32 s4, 11
	s_mov_b32 s5, 0x3fe00000
	v_fma_f64 v[28:29], -v[26:27], v[26:27], v[22:23]
	v_fma_f64 v[20:21], v[18:19], v[20:21], s[4:5]
	s_mov_b32 s4, 0xaca809cb
	s_mov_b32 s5, 0x3fe9be62
	v_fma_f64 v[5:6], v[5:6], v[11:12], -v[14:15]
	v_fma_f64 v[11:12], v[28:29], v[24:25], v[26:27]
	v_fma_f64 v[20:21], v[18:19], v[20:21], 1.0
	v_add_f64 v[5:6], v[5:6], s[4:5]
	s_mov_b32 s4, 0
	s_mov_b32 s5, 0x40900000
	v_fma_f64 v[26:27], -v[11:12], v[11:12], v[22:23]
	v_fma_f64 v[18:19], v[18:19], v[20:21], 1.0
	v_cmp_ngt_f64_e64 s[4:5], |v[7:8]|, s[4:5]
	v_mov_b32_e32 v7, 0xffffff80
	v_cndmask_b32_e32 v7, 0, v7, vcc
	v_add_f64 v[5:6], v[5:6], -v[14:15]
	v_cvt_i32_f64_e32 v14, v[16:17]
	v_mov_b32_e32 v16, 0x7ff00000
	v_fma_f64 v[11:12], v[26:27], v[24:25], v[11:12]
	v_mov_b32_e32 v17, 0x260
	v_ldexp_f64 v[14:15], v[18:19], v14
	v_cmp_class_f64_e32 vcc, v[22:23], v17
	v_mul_f64 v[5:6], v[5:6], 0.5
	v_ldexp_f64 v[7:8], v[11:12], v7
	v_cndmask_b32_e64 v12, v16, v15, s[4:5]
	v_cndmask_b32_e64 v11, 0, v14, s[4:5]
	v_mul_f64 v[5:6], v[11:12], v[5:6]
	v_cndmask_b32_e32 v8, v8, v23, vcc
	v_cndmask_b32_e32 v7, v7, v22, vcc
	v_div_scale_f64 v[11:12], s[4:5], v[7:8], v[7:8], v[5:6]
	v_div_scale_f64 v[18:19], vcc, v[5:6], v[7:8], v[5:6]
	v_rcp_f64_e32 v[14:15], v[11:12]
	v_fma_f64 v[16:17], -v[11:12], v[14:15], 1.0
	v_fma_f64 v[14:15], v[14:15], v[16:17], v[14:15]
	v_fma_f64 v[16:17], -v[11:12], v[14:15], 1.0
	v_fma_f64 v[14:15], v[14:15], v[16:17], v[14:15]
	v_mul_f64 v[16:17], v[18:19], v[14:15]
	v_fma_f64 v[11:12], -v[11:12], v[16:17], v[18:19]
	v_div_fmas_f64 v[11:12], v[11:12], v[14:15], v[16:17]
	v_div_fixup_f64 v[5:6], v[11:12], v[7:8], v[5:6]
.LBB5_7:
	s_or_b64 exec, exec, s[14:15]
	s_mov_b32 s4, 0
	s_mov_b32 s5, 0x40200000
	v_cmp_le_f64_e64 s[4:5], |v[9:10]|, s[4:5]
	s_and_saveexec_b64 s[14:15], s[4:5]
	s_xor_b64 s[4:5], exec, s[14:15]
	s_cbranch_execz .LBB5_9
; %bb.8:
	v_fma_f64 v[7:8], |v[9:10]|, 0.5, -2.0
	v_mov_b32_e32 v11, 0x977da589
	v_mov_b32_e32 v12, 0x3c833362
	s_mov_b32 s15, 0xbc545cb7
	s_mov_b32 s14, 0x2134d0ef
	s_mov_b32 s16, 0x3b39803f
	s_mov_b32 s17, 0xbc7abc9e
	v_mov_b32_e32 v18, 0xfca7ab0c
	v_fma_f64 v[11:12], v[7:8], s[14:15], v[11:12]
	s_mov_b32 s15, 0x3c545cb7
	v_mov_b32_e32 v19, 0x3e928af3
	v_fma_f64 v[14:15], v[7:8], v[11:12], s[14:15]
	s_mov_b32 s14, 0x721ebbb4
	s_mov_b32 s15, 0xbcb184eb
	v_add_f64 v[14:15], v[14:15], s[14:15]
	s_mov_b32 s14, 0x93f65eba
	s_mov_b32 s15, 0x3cdee6d8
	v_fma_f64 v[11:12], v[7:8], v[14:15], -v[11:12]
	v_add_f64 v[11:12], v[11:12], s[14:15]
	s_mov_b32 s14, 0xc297fbeb
	s_mov_b32 s15, 0xbd0a5022
	v_fma_f64 v[14:15], v[7:8], v[11:12], -v[14:15]
	;; [unrolled: 4-line block ×20, first 2 shown]
	v_add_f64 v[14:15], v[14:15], s[14:15]
	s_mov_b32 s14, 0x652b82fe
	s_mov_b32 s15, 0x3ff71547
	v_mul_f64 v[16:17], |v[9:10]|, s[14:15]
	s_mov_b32 s14, 0xf3dde3dd
	s_mov_b32 s15, 0x3f859961
	v_fma_f64 v[11:12], v[7:8], v[14:15], -v[11:12]
	v_rndne_f64_e32 v[16:17], v[16:17]
	v_add_f64 v[11:12], v[11:12], s[14:15]
	s_mov_b32 s14, 0xfefa39ef
	s_mov_b32 s15, 0xbfe62e42
	v_fma_f64 v[9:10], v[16:17], s[14:15], |v[9:10]|
	s_mov_b32 s14, 0xf121b6f0
	s_mov_b32 s15, 0xbf984e9e
	v_fma_f64 v[14:15], v[7:8], v[11:12], -v[14:15]
	v_fma_f64 v[9:10], v[16:17], s[16:17], v[9:10]
	s_mov_b32 s16, 0x623fde64
	s_mov_b32 s17, 0x3ec71dee
	v_add_f64 v[14:15], v[14:15], s[14:15]
	s_mov_b32 s14, 0x6a5dcb37
	s_mov_b32 s15, 0x3e5ade15
	v_fma_f64 v[18:19], v[9:10], s[14:15], v[18:19]
	s_mov_b32 s14, 0xcea8a32d
	s_mov_b32 s15, 0x3fa93e8a
	v_fma_f64 v[11:12], v[7:8], v[14:15], -v[11:12]
	v_fma_f64 v[18:19], v[9:10], v[18:19], s[16:17]
	s_mov_b32 s16, 0x14761f6e
	s_mov_b32 s17, 0x3f2a01a0
	v_add_f64 v[11:12], v[11:12], s[14:15]
	s_mov_b32 s14, 0x7c89e6b0
	s_mov_b32 s15, 0x3efa0199
	v_fma_f64 v[18:19], v[9:10], v[18:19], s[14:15]
	;; [unrolled: 10-line block ×4, first 2 shown]
	s_mov_b32 s14, 0xc057cd8d
	s_mov_b32 s15, 0xbfd37feb
	v_fma_f64 v[14:15], v[7:8], v[11:12], -v[14:15]
	v_fma_f64 v[18:19], v[9:10], v[18:19], s[16:17]
	v_add_f64 v[14:15], v[14:15], s[14:15]
	s_mov_b32 s14, 11
	s_mov_b32 s15, 0x3fe00000
	v_fma_f64 v[18:19], v[9:10], v[18:19], s[14:15]
	s_mov_b32 s14, 0x9035a22a
	s_mov_b32 s15, 0x3fe5a84e
	v_fma_f64 v[7:8], v[7:8], v[14:15], -v[11:12]
	v_fma_f64 v[14:15], v[9:10], v[18:19], 1.0
	v_add_f64 v[7:8], v[7:8], s[14:15]
	v_fma_f64 v[9:10], v[9:10], v[14:15], 1.0
	v_add_f64 v[7:8], v[7:8], -v[11:12]
	v_cvt_i32_f64_e32 v11, v[16:17]
	v_ldexp_f64 v[9:10], v[9:10], v11
	v_mul_f64 v[7:8], v[7:8], 0.5
	v_mul_f64 v[7:8], v[9:10], v[7:8]
                                        ; implicit-def: $vgpr9_vgpr10
.LBB5_9:
	s_andn2_saveexec_b64 s[14:15], s[4:5]
	s_cbranch_execz .LBB5_11
; %bb.10:
	s_mov_b32 s4, 0
	v_and_b32_e32 v8, 0x7fffffff, v10
	v_mov_b32_e32 v7, v9
	s_mov_b32 s5, 0x40400000
	v_div_scale_f64 v[11:12], s[16:17], v[7:8], v[7:8], s[4:5]
	v_div_scale_f64 v[7:8], vcc, s[4:5], v[7:8], s[4:5]
	s_mov_b32 s16, 0x3b39803f
	s_mov_b32 s17, 0xbc7abc9e
	v_mov_b32_e32 v20, 0xfca7ab0c
	v_mov_b32_e32 v21, 0x3e928af3
	s_mov_b32 s18, 0x623fde64
	s_mov_b32 s19, 0x3ec71dee
	v_mov_b32_e32 v22, 0x100
	v_rcp_f64_e32 v[14:15], v[11:12]
	v_fma_f64 v[16:17], -v[11:12], v[14:15], 1.0
	v_fma_f64 v[14:15], v[14:15], v[16:17], v[14:15]
	v_fma_f64 v[16:17], -v[11:12], v[14:15], 1.0
	v_fma_f64 v[14:15], v[14:15], v[16:17], v[14:15]
	v_mul_f64 v[16:17], v[7:8], v[14:15]
	v_fma_f64 v[7:8], -v[11:12], v[16:17], v[7:8]
	v_mov_b32_e32 v11, 0x66119130
	v_mov_b32_e32 v12, 0xbc5646da
	v_div_fmas_f64 v[7:8], v[7:8], v[14:15], v[16:17]
	v_div_fixup_f64 v[7:8], v[7:8], |v[9:10]|, s[4:5]
	s_mov_b32 s5, 0xbc60adb7
	s_mov_b32 s4, 0x54ca8b19
	v_add_f64 v[7:8], v[7:8], -2.0
	v_fma_f64 v[11:12], v[7:8], s[4:5], v[11:12]
	s_mov_b32 s5, 0x3c60adb7
	v_fma_f64 v[14:15], v[7:8], v[11:12], s[4:5]
	s_mov_b32 s4, 0x12d98421
	s_mov_b32 s5, 0x3c89be18
	v_add_f64 v[14:15], v[14:15], s[4:5]
	s_mov_b32 s4, 0x76041cd
	s_mov_b32 s5, 0x3c83f3dd
	v_fma_f64 v[11:12], v[7:8], v[14:15], -v[11:12]
	v_add_f64 v[11:12], v[11:12], s[4:5]
	s_mov_b32 s4, 0xabd21fe4
	s_mov_b32 s5, 0xbcb4600b
	v_fma_f64 v[14:15], v[7:8], v[11:12], -v[14:15]
	;; [unrolled: 4-line block ×15, first 2 shown]
	v_add_f64 v[11:12], v[11:12], s[4:5]
	s_mov_b32 s4, 0x652b82fe
	s_mov_b32 s5, 0x3ff71547
	v_mul_f64 v[16:17], |v[9:10]|, s[4:5]
	s_mov_b32 s4, 0xa9225b87
	s_mov_b32 s5, 0x3e2d2c64
	v_fma_f64 v[14:15], v[7:8], v[11:12], -v[14:15]
	v_rndne_f64_e32 v[16:17], v[16:17]
	v_add_f64 v[14:15], v[14:15], s[4:5]
	s_mov_b32 s4, 0xfefa39ef
	s_mov_b32 s5, 0xbfe62e42
	v_fma_f64 v[18:19], v[16:17], s[4:5], |v[9:10]|
	s_mov_b32 s4, 0x80d6d56d
	s_mov_b32 s5, 0x3e585692
	v_fma_f64 v[11:12], v[7:8], v[14:15], -v[11:12]
	v_fma_f64 v[18:19], v[16:17], s[16:17], v[18:19]
	s_mov_b32 s16, 0xd9cd616e
	s_mov_b32 s17, 0x3e8b8007
	v_add_f64 v[11:12], v[11:12], s[4:5]
	s_mov_b32 s4, 0x6a5dcb37
	s_mov_b32 s5, 0x3e5ade15
	v_fma_f64 v[20:21], v[18:19], s[4:5], v[20:21]
	s_mov_b32 s4, 0
	s_brev_b32 s5, 8
	v_cmp_lt_f64_e64 vcc, |v[9:10]|, s[4:5]
	s_mov_b32 s4, 0x7c89e6b0
	v_fma_f64 v[14:15], v[7:8], v[11:12], -v[14:15]
	s_mov_b32 s5, 0x3efa0199
	v_fma_f64 v[20:21], v[18:19], v[20:21], s[18:19]
	v_cndmask_b32_e32 v22, 0, v22, vcc
	v_ldexp_f64 v[22:23], |v[9:10]|, v22
	v_add_f64 v[14:15], v[14:15], s[16:17]
	s_mov_b32 s16, 0x14761f6e
	s_mov_b32 s17, 0x3f2a01a0
	v_fma_f64 v[20:21], v[18:19], v[20:21], s[4:5]
	s_mov_b32 s4, 0xc101c586
	s_mov_b32 s5, 0x3ec8412b
	v_rsq_f64_e32 v[24:25], v[22:23]
	v_fma_f64 v[11:12], v[7:8], v[14:15], -v[11:12]
	v_fma_f64 v[20:21], v[18:19], v[20:21], s[16:17]
	s_mov_b32 s16, 0x11122322
	s_mov_b32 s17, 0x3f811111
	v_add_f64 v[11:12], v[11:12], s[4:5]
	s_mov_b32 s4, 0x1852b7b0
	s_mov_b32 s5, 0x3f56c16c
	v_fma_f64 v[20:21], v[18:19], v[20:21], s[4:5]
	s_mov_b32 s4, 0x78999e52
	s_mov_b32 s5, 0x3f120fa3
	v_mul_f64 v[26:27], v[22:23], v[24:25]
	v_fma_f64 v[14:15], v[7:8], v[11:12], -v[14:15]
	v_mul_f64 v[24:25], v[24:25], 0.5
	v_fma_f64 v[20:21], v[18:19], v[20:21], s[16:17]
	s_mov_b32 s16, 0x55555511
	s_mov_b32 s17, 0x3fc55555
	v_add_f64 v[14:15], v[14:15], s[4:5]
	s_mov_b32 s4, 0x555502a1
	s_mov_b32 s5, 0x3fa55555
	v_fma_f64 v[28:29], -v[24:25], v[26:27], 0.5
	v_fma_f64 v[20:21], v[18:19], v[20:21], s[4:5]
	s_mov_b32 s4, 0xa2e59049
	s_mov_b32 s5, 0x3f6b998c
	v_fma_f64 v[11:12], v[7:8], v[14:15], -v[11:12]
	v_fma_f64 v[26:27], v[26:27], v[28:29], v[26:27]
	v_fma_f64 v[20:21], v[18:19], v[20:21], s[16:17]
	;; [unrolled: 1-line block ×3, first 2 shown]
	v_add_f64 v[11:12], v[11:12], s[4:5]
	s_mov_b32 s4, 11
	s_mov_b32 s5, 0x3fe00000
	v_fma_f64 v[28:29], -v[26:27], v[26:27], v[22:23]
	v_fma_f64 v[20:21], v[18:19], v[20:21], s[4:5]
	s_mov_b32 s4, 0xaca809cb
	s_mov_b32 s5, 0x3fe9be62
	v_fma_f64 v[7:8], v[7:8], v[11:12], -v[14:15]
	v_fma_f64 v[11:12], v[28:29], v[24:25], v[26:27]
	v_fma_f64 v[20:21], v[18:19], v[20:21], 1.0
	v_add_f64 v[7:8], v[7:8], s[4:5]
	s_mov_b32 s4, 0
	s_mov_b32 s5, 0x40900000
	v_fma_f64 v[26:27], -v[11:12], v[11:12], v[22:23]
	v_fma_f64 v[18:19], v[18:19], v[20:21], 1.0
	v_cmp_ngt_f64_e64 s[4:5], |v[9:10]|, s[4:5]
	v_mov_b32_e32 v9, 0xffffff80
	v_cndmask_b32_e32 v9, 0, v9, vcc
	v_add_f64 v[7:8], v[7:8], -v[14:15]
	v_cvt_i32_f64_e32 v14, v[16:17]
	v_mov_b32_e32 v16, 0x7ff00000
	v_fma_f64 v[11:12], v[26:27], v[24:25], v[11:12]
	v_mov_b32_e32 v17, 0x260
	v_ldexp_f64 v[14:15], v[18:19], v14
	v_cmp_class_f64_e32 vcc, v[22:23], v17
	v_mul_f64 v[7:8], v[7:8], 0.5
	v_ldexp_f64 v[9:10], v[11:12], v9
	v_cndmask_b32_e64 v12, v16, v15, s[4:5]
	v_cndmask_b32_e64 v11, 0, v14, s[4:5]
	v_mul_f64 v[7:8], v[11:12], v[7:8]
	v_cndmask_b32_e32 v10, v10, v23, vcc
	v_cndmask_b32_e32 v9, v9, v22, vcc
	v_div_scale_f64 v[11:12], s[4:5], v[9:10], v[9:10], v[7:8]
	v_div_scale_f64 v[18:19], vcc, v[7:8], v[9:10], v[7:8]
	v_rcp_f64_e32 v[14:15], v[11:12]
	v_fma_f64 v[16:17], -v[11:12], v[14:15], 1.0
	v_fma_f64 v[14:15], v[14:15], v[16:17], v[14:15]
	v_fma_f64 v[16:17], -v[11:12], v[14:15], 1.0
	v_fma_f64 v[14:15], v[14:15], v[16:17], v[14:15]
	v_mul_f64 v[16:17], v[18:19], v[14:15]
	v_fma_f64 v[11:12], -v[11:12], v[16:17], v[18:19]
	v_div_fmas_f64 v[11:12], v[11:12], v[14:15], v[16:17]
	v_div_fixup_f64 v[7:8], v[11:12], v[9:10], v[7:8]
.LBB5_11:
	s_or_b64 exec, exec, s[14:15]
	s_mov_b32 s4, 0
	s_mov_b32 s5, 0x40200000
	s_waitcnt vmcnt(0)
	v_cmp_le_f64_e64 s[4:5], |v[1:2]|, s[4:5]
                                        ; implicit-def: $vgpr9_vgpr10
	s_and_saveexec_b64 s[14:15], s[4:5]
	s_xor_b64 s[4:5], exec, s[14:15]
	s_cbranch_execz .LBB5_13
; %bb.12:
	v_fma_f64 v[9:10], |v[1:2]|, 0.5, -2.0
	v_mov_b32_e32 v11, 0x977da589
	v_mov_b32_e32 v12, 0x3c833362
	s_mov_b32 s15, 0xbc545cb7
	s_mov_b32 s14, 0x2134d0ef
	;; [unrolled: 1-line block ×4, first 2 shown]
	v_mov_b32_e32 v18, 0xfca7ab0c
	v_fma_f64 v[11:12], v[9:10], s[14:15], v[11:12]
	s_mov_b32 s15, 0x3c545cb7
	v_mov_b32_e32 v19, 0x3e928af3
	v_fma_f64 v[14:15], v[9:10], v[11:12], s[14:15]
	s_mov_b32 s14, 0x721ebbb4
	s_mov_b32 s15, 0xbcb184eb
	v_add_f64 v[14:15], v[14:15], s[14:15]
	s_mov_b32 s14, 0x93f65eba
	s_mov_b32 s15, 0x3cdee6d8
	v_fma_f64 v[11:12], v[9:10], v[14:15], -v[11:12]
	v_add_f64 v[11:12], v[11:12], s[14:15]
	s_mov_b32 s14, 0xc297fbeb
	s_mov_b32 s15, 0xbd0a5022
	v_fma_f64 v[14:15], v[9:10], v[11:12], -v[14:15]
	;; [unrolled: 4-line block ×20, first 2 shown]
	v_add_f64 v[14:15], v[14:15], s[14:15]
	s_mov_b32 s14, 0x652b82fe
	s_mov_b32 s15, 0x3ff71547
	v_mul_f64 v[16:17], |v[1:2]|, s[14:15]
	s_mov_b32 s14, 0xf3dde3dd
	s_mov_b32 s15, 0x3f859961
	v_fma_f64 v[11:12], v[9:10], v[14:15], -v[11:12]
	v_rndne_f64_e32 v[16:17], v[16:17]
	v_add_f64 v[11:12], v[11:12], s[14:15]
	s_mov_b32 s14, 0xfefa39ef
	s_mov_b32 s15, 0xbfe62e42
	v_fma_f64 v[1:2], v[16:17], s[14:15], |v[1:2]|
	s_mov_b32 s14, 0xf121b6f0
	s_mov_b32 s15, 0xbf984e9e
	v_fma_f64 v[14:15], v[9:10], v[11:12], -v[14:15]
	v_fma_f64 v[1:2], v[16:17], s[16:17], v[1:2]
	s_mov_b32 s16, 0x623fde64
	s_mov_b32 s17, 0x3ec71dee
	v_add_f64 v[14:15], v[14:15], s[14:15]
	s_mov_b32 s14, 0x6a5dcb37
	s_mov_b32 s15, 0x3e5ade15
	v_fma_f64 v[18:19], v[1:2], s[14:15], v[18:19]
	s_mov_b32 s14, 0xcea8a32d
	s_mov_b32 s15, 0x3fa93e8a
	v_fma_f64 v[11:12], v[9:10], v[14:15], -v[11:12]
	v_fma_f64 v[18:19], v[1:2], v[18:19], s[16:17]
	s_mov_b32 s16, 0x14761f6e
	s_mov_b32 s17, 0x3f2a01a0
	v_add_f64 v[11:12], v[11:12], s[14:15]
	s_mov_b32 s14, 0x7c89e6b0
	s_mov_b32 s15, 0x3efa0199
	v_fma_f64 v[18:19], v[1:2], v[18:19], s[14:15]
	s_mov_b32 s14, 0x342d06ea
	s_mov_b32 s15, 0xbfb84b70
	v_fma_f64 v[14:15], v[9:10], v[11:12], -v[14:15]
	v_fma_f64 v[18:19], v[1:2], v[18:19], s[16:17]
	s_mov_b32 s16, 0x11122322
	s_mov_b32 s17, 0x3f811111
	v_add_f64 v[14:15], v[14:15], s[14:15]
	s_mov_b32 s14, 0x1852b7b0
	s_mov_b32 s15, 0x3f56c16c
	v_fma_f64 v[18:19], v[1:2], v[18:19], s[14:15]
	s_mov_b32 s14, 0x77ac88c0
	s_mov_b32 s15, 0x3fc5f7ac
	v_fma_f64 v[11:12], v[9:10], v[14:15], -v[11:12]
	v_fma_f64 v[18:19], v[1:2], v[18:19], s[16:17]
	s_mov_b32 s16, 0x55555511
	s_mov_b32 s17, 0x3fc55555
	v_add_f64 v[11:12], v[11:12], s[14:15]
	s_mov_b32 s14, 0x555502a1
	s_mov_b32 s15, 0x3fa55555
	v_fma_f64 v[18:19], v[1:2], v[18:19], s[14:15]
	s_mov_b32 s14, 0xc057cd8d
	s_mov_b32 s15, 0xbfd37feb
	v_fma_f64 v[14:15], v[9:10], v[11:12], -v[14:15]
	v_fma_f64 v[18:19], v[1:2], v[18:19], s[16:17]
	v_add_f64 v[14:15], v[14:15], s[14:15]
	s_mov_b32 s14, 11
	s_mov_b32 s15, 0x3fe00000
	v_fma_f64 v[18:19], v[1:2], v[18:19], s[14:15]
	s_mov_b32 s14, 0x9035a22a
	s_mov_b32 s15, 0x3fe5a84e
	v_fma_f64 v[9:10], v[9:10], v[14:15], -v[11:12]
	v_fma_f64 v[14:15], v[1:2], v[18:19], 1.0
	v_add_f64 v[9:10], v[9:10], s[14:15]
	v_fma_f64 v[1:2], v[1:2], v[14:15], 1.0
	v_add_f64 v[9:10], v[9:10], -v[11:12]
	v_cvt_i32_f64_e32 v11, v[16:17]
	v_ldexp_f64 v[1:2], v[1:2], v11
	v_mul_f64 v[9:10], v[9:10], 0.5
	v_mul_f64 v[9:10], v[1:2], v[9:10]
.LBB5_13:
	s_andn2_saveexec_b64 s[14:15], s[4:5]
	s_cbranch_execz .LBB5_15
; %bb.14:
	s_mov_b32 s4, 0
	v_and_b32_e32 v10, 0x7fffffff, v2
	v_mov_b32_e32 v9, v1
	s_mov_b32 s5, 0x40400000
	v_div_scale_f64 v[11:12], s[16:17], v[9:10], v[9:10], s[4:5]
	v_div_scale_f64 v[9:10], vcc, s[4:5], v[9:10], s[4:5]
	s_mov_b32 s16, 0x3b39803f
	s_mov_b32 s17, 0xbc7abc9e
	v_mov_b32_e32 v20, 0xfca7ab0c
	v_mov_b32_e32 v21, 0x3e928af3
	s_mov_b32 s18, 0x623fde64
	s_mov_b32 s19, 0x3ec71dee
	v_mov_b32_e32 v22, 0x100
	v_rcp_f64_e32 v[14:15], v[11:12]
	v_fma_f64 v[16:17], -v[11:12], v[14:15], 1.0
	v_fma_f64 v[14:15], v[14:15], v[16:17], v[14:15]
	v_fma_f64 v[16:17], -v[11:12], v[14:15], 1.0
	v_fma_f64 v[14:15], v[14:15], v[16:17], v[14:15]
	v_mul_f64 v[16:17], v[9:10], v[14:15]
	v_fma_f64 v[9:10], -v[11:12], v[16:17], v[9:10]
	v_mov_b32_e32 v11, 0x66119130
	v_mov_b32_e32 v12, 0xbc5646da
	v_div_fmas_f64 v[9:10], v[9:10], v[14:15], v[16:17]
	v_div_fixup_f64 v[9:10], v[9:10], |v[1:2]|, s[4:5]
	s_mov_b32 s5, 0xbc60adb7
	s_mov_b32 s4, 0x54ca8b19
	v_add_f64 v[9:10], v[9:10], -2.0
	v_fma_f64 v[11:12], v[9:10], s[4:5], v[11:12]
	s_mov_b32 s5, 0x3c60adb7
	v_fma_f64 v[14:15], v[9:10], v[11:12], s[4:5]
	s_mov_b32 s4, 0x12d98421
	s_mov_b32 s5, 0x3c89be18
	v_add_f64 v[14:15], v[14:15], s[4:5]
	s_mov_b32 s4, 0x76041cd
	s_mov_b32 s5, 0x3c83f3dd
	v_fma_f64 v[11:12], v[9:10], v[14:15], -v[11:12]
	v_add_f64 v[11:12], v[11:12], s[4:5]
	s_mov_b32 s4, 0xabd21fe4
	s_mov_b32 s5, 0xbcb4600b
	v_fma_f64 v[14:15], v[9:10], v[11:12], -v[14:15]
	;; [unrolled: 4-line block ×15, first 2 shown]
	v_add_f64 v[11:12], v[11:12], s[4:5]
	s_mov_b32 s4, 0x652b82fe
	s_mov_b32 s5, 0x3ff71547
	v_mul_f64 v[16:17], |v[1:2]|, s[4:5]
	s_mov_b32 s4, 0xa9225b87
	s_mov_b32 s5, 0x3e2d2c64
	v_fma_f64 v[14:15], v[9:10], v[11:12], -v[14:15]
	v_rndne_f64_e32 v[16:17], v[16:17]
	v_add_f64 v[14:15], v[14:15], s[4:5]
	s_mov_b32 s4, 0xfefa39ef
	s_mov_b32 s5, 0xbfe62e42
	v_fma_f64 v[18:19], v[16:17], s[4:5], |v[1:2]|
	s_mov_b32 s4, 0x80d6d56d
	s_mov_b32 s5, 0x3e585692
	v_fma_f64 v[11:12], v[9:10], v[14:15], -v[11:12]
	v_fma_f64 v[18:19], v[16:17], s[16:17], v[18:19]
	s_mov_b32 s16, 0xd9cd616e
	s_mov_b32 s17, 0x3e8b8007
	v_add_f64 v[11:12], v[11:12], s[4:5]
	s_mov_b32 s4, 0x6a5dcb37
	s_mov_b32 s5, 0x3e5ade15
	v_fma_f64 v[20:21], v[18:19], s[4:5], v[20:21]
	s_mov_b32 s4, 0
	s_brev_b32 s5, 8
	v_cmp_lt_f64_e64 vcc, |v[1:2]|, s[4:5]
	s_mov_b32 s4, 0x7c89e6b0
	v_fma_f64 v[14:15], v[9:10], v[11:12], -v[14:15]
	s_mov_b32 s5, 0x3efa0199
	v_fma_f64 v[20:21], v[18:19], v[20:21], s[18:19]
	v_cndmask_b32_e32 v22, 0, v22, vcc
	v_ldexp_f64 v[22:23], |v[1:2]|, v22
	v_add_f64 v[14:15], v[14:15], s[16:17]
	s_mov_b32 s16, 0x14761f6e
	s_mov_b32 s17, 0x3f2a01a0
	v_fma_f64 v[20:21], v[18:19], v[20:21], s[4:5]
	s_mov_b32 s4, 0xc101c586
	s_mov_b32 s5, 0x3ec8412b
	v_rsq_f64_e32 v[24:25], v[22:23]
	v_fma_f64 v[11:12], v[9:10], v[14:15], -v[11:12]
	v_fma_f64 v[20:21], v[18:19], v[20:21], s[16:17]
	s_mov_b32 s16, 0x11122322
	s_mov_b32 s17, 0x3f811111
	v_add_f64 v[11:12], v[11:12], s[4:5]
	s_mov_b32 s4, 0x1852b7b0
	s_mov_b32 s5, 0x3f56c16c
	v_fma_f64 v[20:21], v[18:19], v[20:21], s[4:5]
	s_mov_b32 s4, 0x78999e52
	s_mov_b32 s5, 0x3f120fa3
	v_mul_f64 v[26:27], v[22:23], v[24:25]
	v_fma_f64 v[14:15], v[9:10], v[11:12], -v[14:15]
	v_mul_f64 v[24:25], v[24:25], 0.5
	v_fma_f64 v[20:21], v[18:19], v[20:21], s[16:17]
	s_mov_b32 s16, 0x55555511
	s_mov_b32 s17, 0x3fc55555
	v_add_f64 v[14:15], v[14:15], s[4:5]
	s_mov_b32 s4, 0x555502a1
	s_mov_b32 s5, 0x3fa55555
	v_fma_f64 v[28:29], -v[24:25], v[26:27], 0.5
	v_fma_f64 v[20:21], v[18:19], v[20:21], s[4:5]
	s_mov_b32 s4, 0xa2e59049
	s_mov_b32 s5, 0x3f6b998c
	v_fma_f64 v[11:12], v[9:10], v[14:15], -v[11:12]
	v_fma_f64 v[26:27], v[26:27], v[28:29], v[26:27]
	v_fma_f64 v[20:21], v[18:19], v[20:21], s[16:17]
	;; [unrolled: 1-line block ×3, first 2 shown]
	v_add_f64 v[11:12], v[11:12], s[4:5]
	s_mov_b32 s4, 11
	s_mov_b32 s5, 0x3fe00000
	v_fma_f64 v[28:29], -v[26:27], v[26:27], v[22:23]
	v_fma_f64 v[20:21], v[18:19], v[20:21], s[4:5]
	s_mov_b32 s4, 0xaca809cb
	s_mov_b32 s5, 0x3fe9be62
	v_fma_f64 v[9:10], v[9:10], v[11:12], -v[14:15]
	v_fma_f64 v[11:12], v[28:29], v[24:25], v[26:27]
	v_fma_f64 v[20:21], v[18:19], v[20:21], 1.0
	v_add_f64 v[9:10], v[9:10], s[4:5]
	s_mov_b32 s4, 0
	s_mov_b32 s5, 0x40900000
	v_fma_f64 v[26:27], -v[11:12], v[11:12], v[22:23]
	v_fma_f64 v[18:19], v[18:19], v[20:21], 1.0
	v_cmp_ngt_f64_e64 s[4:5], |v[1:2]|, s[4:5]
	v_add_f64 v[9:10], v[9:10], -v[14:15]
	v_cvt_i32_f64_e32 v14, v[16:17]
	v_mov_b32_e32 v16, 0x7ff00000
	v_fma_f64 v[11:12], v[26:27], v[24:25], v[11:12]
	v_mov_b32_e32 v17, 0x260
	v_ldexp_f64 v[14:15], v[18:19], v14
	v_mul_f64 v[1:2], v[9:10], 0.5
	v_mov_b32_e32 v9, 0xffffff80
	v_cndmask_b32_e32 v9, 0, v9, vcc
	v_ldexp_f64 v[9:10], v[11:12], v9
	v_cmp_class_f64_e32 vcc, v[22:23], v17
	v_cndmask_b32_e64 v12, v16, v15, s[4:5]
	v_cndmask_b32_e64 v11, 0, v14, s[4:5]
	v_mul_f64 v[1:2], v[11:12], v[1:2]
	v_cndmask_b32_e32 v10, v10, v23, vcc
	v_cndmask_b32_e32 v9, v9, v22, vcc
	v_div_scale_f64 v[11:12], s[4:5], v[9:10], v[9:10], v[1:2]
	v_div_scale_f64 v[18:19], vcc, v[1:2], v[9:10], v[1:2]
	v_rcp_f64_e32 v[14:15], v[11:12]
	v_fma_f64 v[16:17], -v[11:12], v[14:15], 1.0
	v_fma_f64 v[14:15], v[14:15], v[16:17], v[14:15]
	v_fma_f64 v[16:17], -v[11:12], v[14:15], 1.0
	v_fma_f64 v[14:15], v[14:15], v[16:17], v[14:15]
	v_mul_f64 v[16:17], v[18:19], v[14:15]
	v_fma_f64 v[11:12], -v[11:12], v[16:17], v[18:19]
	v_div_fmas_f64 v[11:12], v[11:12], v[14:15], v[16:17]
	v_div_fixup_f64 v[9:10], v[11:12], v[9:10], v[1:2]
.LBB5_15:
	s_or_b64 exec, exec, s[14:15]
	s_mov_b32 s4, 0
	s_mov_b32 s5, 0x40200000
	v_cmp_le_f64_e64 s[4:5], |v[3:4]|, s[4:5]
	s_and_saveexec_b64 s[14:15], s[4:5]
	s_xor_b64 s[4:5], exec, s[14:15]
	s_cbranch_execz .LBB5_17
; %bb.16:
	v_fma_f64 v[1:2], |v[3:4]|, 0.5, -2.0
	v_mov_b32_e32 v11, 0x977da589
	v_mov_b32_e32 v12, 0x3c833362
	s_mov_b32 s15, 0xbc545cb7
	s_mov_b32 s14, 0x2134d0ef
	;; [unrolled: 1-line block ×4, first 2 shown]
	v_mov_b32_e32 v18, 0xfca7ab0c
	v_fma_f64 v[11:12], v[1:2], s[14:15], v[11:12]
	s_mov_b32 s15, 0x3c545cb7
	v_mov_b32_e32 v19, 0x3e928af3
	v_fma_f64 v[14:15], v[1:2], v[11:12], s[14:15]
	s_mov_b32 s14, 0x721ebbb4
	s_mov_b32 s15, 0xbcb184eb
	v_add_f64 v[14:15], v[14:15], s[14:15]
	s_mov_b32 s14, 0x93f65eba
	s_mov_b32 s15, 0x3cdee6d8
	v_fma_f64 v[11:12], v[1:2], v[14:15], -v[11:12]
	v_add_f64 v[11:12], v[11:12], s[14:15]
	s_mov_b32 s14, 0xc297fbeb
	s_mov_b32 s15, 0xbd0a5022
	v_fma_f64 v[14:15], v[1:2], v[11:12], -v[14:15]
	;; [unrolled: 4-line block ×20, first 2 shown]
	v_add_f64 v[14:15], v[14:15], s[14:15]
	s_mov_b32 s14, 0x652b82fe
	s_mov_b32 s15, 0x3ff71547
	v_mul_f64 v[16:17], |v[3:4]|, s[14:15]
	s_mov_b32 s14, 0xf3dde3dd
	s_mov_b32 s15, 0x3f859961
	v_fma_f64 v[11:12], v[1:2], v[14:15], -v[11:12]
	v_rndne_f64_e32 v[16:17], v[16:17]
	v_add_f64 v[11:12], v[11:12], s[14:15]
	s_mov_b32 s14, 0xfefa39ef
	s_mov_b32 s15, 0xbfe62e42
	v_fma_f64 v[3:4], v[16:17], s[14:15], |v[3:4]|
	s_mov_b32 s14, 0xf121b6f0
	s_mov_b32 s15, 0xbf984e9e
	v_fma_f64 v[14:15], v[1:2], v[11:12], -v[14:15]
	v_fma_f64 v[3:4], v[16:17], s[16:17], v[3:4]
	s_mov_b32 s16, 0x623fde64
	s_mov_b32 s17, 0x3ec71dee
	v_add_f64 v[14:15], v[14:15], s[14:15]
	s_mov_b32 s14, 0x6a5dcb37
	s_mov_b32 s15, 0x3e5ade15
	v_fma_f64 v[18:19], v[3:4], s[14:15], v[18:19]
	s_mov_b32 s14, 0xcea8a32d
	s_mov_b32 s15, 0x3fa93e8a
	v_fma_f64 v[11:12], v[1:2], v[14:15], -v[11:12]
	v_fma_f64 v[18:19], v[3:4], v[18:19], s[16:17]
	s_mov_b32 s16, 0x14761f6e
	s_mov_b32 s17, 0x3f2a01a0
	v_add_f64 v[11:12], v[11:12], s[14:15]
	s_mov_b32 s14, 0x7c89e6b0
	s_mov_b32 s15, 0x3efa0199
	v_fma_f64 v[18:19], v[3:4], v[18:19], s[14:15]
	;; [unrolled: 10-line block ×4, first 2 shown]
	s_mov_b32 s14, 0xc057cd8d
	s_mov_b32 s15, 0xbfd37feb
	v_fma_f64 v[14:15], v[1:2], v[11:12], -v[14:15]
	v_fma_f64 v[18:19], v[3:4], v[18:19], s[16:17]
	v_add_f64 v[14:15], v[14:15], s[14:15]
	s_mov_b32 s14, 11
	s_mov_b32 s15, 0x3fe00000
	v_fma_f64 v[18:19], v[3:4], v[18:19], s[14:15]
	s_mov_b32 s14, 0x9035a22a
	s_mov_b32 s15, 0x3fe5a84e
	v_fma_f64 v[1:2], v[1:2], v[14:15], -v[11:12]
	v_fma_f64 v[14:15], v[3:4], v[18:19], 1.0
	v_add_f64 v[1:2], v[1:2], s[14:15]
	v_fma_f64 v[3:4], v[3:4], v[14:15], 1.0
	v_add_f64 v[1:2], v[1:2], -v[11:12]
	v_cvt_i32_f64_e32 v11, v[16:17]
	v_ldexp_f64 v[3:4], v[3:4], v11
	v_mul_f64 v[1:2], v[1:2], 0.5
	v_mul_f64 v[11:12], v[3:4], v[1:2]
                                        ; implicit-def: $vgpr3_vgpr4
.LBB5_17:
	s_andn2_saveexec_b64 s[14:15], s[4:5]
	s_cbranch_execz .LBB5_19
; %bb.18:
	s_mov_b32 s4, 0
	v_and_b32_e32 v2, 0x7fffffff, v4
	v_mov_b32_e32 v1, v3
	s_mov_b32 s5, 0x40400000
	v_div_scale_f64 v[11:12], s[16:17], v[1:2], v[1:2], s[4:5]
	v_div_scale_f64 v[1:2], vcc, s[4:5], v[1:2], s[4:5]
	s_mov_b32 s16, 0x3b39803f
	s_mov_b32 s17, 0xbc7abc9e
	v_mov_b32_e32 v20, 0xfca7ab0c
	v_mov_b32_e32 v21, 0x3e928af3
	s_mov_b32 s18, 0x623fde64
	s_mov_b32 s19, 0x3ec71dee
	v_mov_b32_e32 v22, 0x100
	v_rcp_f64_e32 v[14:15], v[11:12]
	v_fma_f64 v[16:17], -v[11:12], v[14:15], 1.0
	v_fma_f64 v[14:15], v[14:15], v[16:17], v[14:15]
	v_fma_f64 v[16:17], -v[11:12], v[14:15], 1.0
	v_fma_f64 v[14:15], v[14:15], v[16:17], v[14:15]
	v_mul_f64 v[16:17], v[1:2], v[14:15]
	v_fma_f64 v[1:2], -v[11:12], v[16:17], v[1:2]
	v_mov_b32_e32 v11, 0x66119130
	v_mov_b32_e32 v12, 0xbc5646da
	v_div_fmas_f64 v[1:2], v[1:2], v[14:15], v[16:17]
	v_div_fixup_f64 v[1:2], v[1:2], |v[3:4]|, s[4:5]
	s_mov_b32 s5, 0xbc60adb7
	s_mov_b32 s4, 0x54ca8b19
	v_add_f64 v[1:2], v[1:2], -2.0
	v_fma_f64 v[11:12], v[1:2], s[4:5], v[11:12]
	s_mov_b32 s5, 0x3c60adb7
	v_fma_f64 v[14:15], v[1:2], v[11:12], s[4:5]
	s_mov_b32 s4, 0x12d98421
	s_mov_b32 s5, 0x3c89be18
	v_add_f64 v[14:15], v[14:15], s[4:5]
	s_mov_b32 s4, 0x76041cd
	s_mov_b32 s5, 0x3c83f3dd
	v_fma_f64 v[11:12], v[1:2], v[14:15], -v[11:12]
	v_add_f64 v[11:12], v[11:12], s[4:5]
	s_mov_b32 s4, 0xabd21fe4
	s_mov_b32 s5, 0xbcb4600b
	v_fma_f64 v[14:15], v[1:2], v[11:12], -v[14:15]
	;; [unrolled: 4-line block ×15, first 2 shown]
	v_add_f64 v[11:12], v[11:12], s[4:5]
	s_mov_b32 s4, 0x652b82fe
	s_mov_b32 s5, 0x3ff71547
	v_mul_f64 v[16:17], |v[3:4]|, s[4:5]
	s_mov_b32 s4, 0xa9225b87
	s_mov_b32 s5, 0x3e2d2c64
	v_fma_f64 v[14:15], v[1:2], v[11:12], -v[14:15]
	v_rndne_f64_e32 v[16:17], v[16:17]
	v_add_f64 v[14:15], v[14:15], s[4:5]
	s_mov_b32 s4, 0xfefa39ef
	s_mov_b32 s5, 0xbfe62e42
	v_fma_f64 v[18:19], v[16:17], s[4:5], |v[3:4]|
	s_mov_b32 s4, 0x80d6d56d
	s_mov_b32 s5, 0x3e585692
	v_fma_f64 v[11:12], v[1:2], v[14:15], -v[11:12]
	v_fma_f64 v[18:19], v[16:17], s[16:17], v[18:19]
	s_mov_b32 s16, 0xd9cd616e
	s_mov_b32 s17, 0x3e8b8007
	v_add_f64 v[11:12], v[11:12], s[4:5]
	s_mov_b32 s4, 0x6a5dcb37
	s_mov_b32 s5, 0x3e5ade15
	v_fma_f64 v[20:21], v[18:19], s[4:5], v[20:21]
	s_mov_b32 s4, 0
	s_brev_b32 s5, 8
	v_cmp_lt_f64_e64 vcc, |v[3:4]|, s[4:5]
	s_mov_b32 s4, 0x7c89e6b0
	v_fma_f64 v[14:15], v[1:2], v[11:12], -v[14:15]
	s_mov_b32 s5, 0x3efa0199
	v_fma_f64 v[20:21], v[18:19], v[20:21], s[18:19]
	v_cndmask_b32_e32 v22, 0, v22, vcc
	v_ldexp_f64 v[22:23], |v[3:4]|, v22
	v_add_f64 v[14:15], v[14:15], s[16:17]
	s_mov_b32 s16, 0x14761f6e
	s_mov_b32 s17, 0x3f2a01a0
	v_fma_f64 v[20:21], v[18:19], v[20:21], s[4:5]
	s_mov_b32 s4, 0xc101c586
	s_mov_b32 s5, 0x3ec8412b
	v_rsq_f64_e32 v[24:25], v[22:23]
	v_fma_f64 v[11:12], v[1:2], v[14:15], -v[11:12]
	v_fma_f64 v[20:21], v[18:19], v[20:21], s[16:17]
	s_mov_b32 s16, 0x11122322
	s_mov_b32 s17, 0x3f811111
	v_add_f64 v[11:12], v[11:12], s[4:5]
	s_mov_b32 s4, 0x1852b7b0
	s_mov_b32 s5, 0x3f56c16c
	v_fma_f64 v[20:21], v[18:19], v[20:21], s[4:5]
	s_mov_b32 s4, 0x78999e52
	s_mov_b32 s5, 0x3f120fa3
	v_mul_f64 v[26:27], v[22:23], v[24:25]
	v_fma_f64 v[14:15], v[1:2], v[11:12], -v[14:15]
	v_mul_f64 v[24:25], v[24:25], 0.5
	v_fma_f64 v[20:21], v[18:19], v[20:21], s[16:17]
	s_mov_b32 s16, 0x55555511
	s_mov_b32 s17, 0x3fc55555
	v_add_f64 v[14:15], v[14:15], s[4:5]
	s_mov_b32 s4, 0x555502a1
	s_mov_b32 s5, 0x3fa55555
	v_fma_f64 v[28:29], -v[24:25], v[26:27], 0.5
	v_fma_f64 v[20:21], v[18:19], v[20:21], s[4:5]
	s_mov_b32 s4, 0xa2e59049
	s_mov_b32 s5, 0x3f6b998c
	v_fma_f64 v[11:12], v[1:2], v[14:15], -v[11:12]
	v_fma_f64 v[26:27], v[26:27], v[28:29], v[26:27]
	v_fma_f64 v[20:21], v[18:19], v[20:21], s[16:17]
	;; [unrolled: 1-line block ×3, first 2 shown]
	v_add_f64 v[11:12], v[11:12], s[4:5]
	s_mov_b32 s4, 11
	s_mov_b32 s5, 0x3fe00000
	v_fma_f64 v[28:29], -v[26:27], v[26:27], v[22:23]
	v_fma_f64 v[20:21], v[18:19], v[20:21], s[4:5]
	s_mov_b32 s4, 0xaca809cb
	s_mov_b32 s5, 0x3fe9be62
	v_fma_f64 v[1:2], v[1:2], v[11:12], -v[14:15]
	v_fma_f64 v[11:12], v[28:29], v[24:25], v[26:27]
	v_fma_f64 v[20:21], v[18:19], v[20:21], 1.0
	v_add_f64 v[1:2], v[1:2], s[4:5]
	s_mov_b32 s4, 0
	s_mov_b32 s5, 0x40900000
	v_fma_f64 v[26:27], -v[11:12], v[11:12], v[22:23]
	v_fma_f64 v[18:19], v[18:19], v[20:21], 1.0
	v_cmp_ngt_f64_e64 s[4:5], |v[3:4]|, s[4:5]
	v_mov_b32_e32 v3, 0xffffff80
	v_cndmask_b32_e32 v3, 0, v3, vcc
	v_add_f64 v[1:2], v[1:2], -v[14:15]
	v_cvt_i32_f64_e32 v14, v[16:17]
	v_mov_b32_e32 v16, 0x7ff00000
	v_fma_f64 v[11:12], v[26:27], v[24:25], v[11:12]
	v_mov_b32_e32 v17, 0x260
	v_ldexp_f64 v[14:15], v[18:19], v14
	v_cmp_class_f64_e32 vcc, v[22:23], v17
	v_mul_f64 v[1:2], v[1:2], 0.5
	v_ldexp_f64 v[3:4], v[11:12], v3
	v_cndmask_b32_e64 v12, v16, v15, s[4:5]
	v_cndmask_b32_e64 v11, 0, v14, s[4:5]
	v_mul_f64 v[1:2], v[11:12], v[1:2]
	v_cndmask_b32_e32 v4, v4, v23, vcc
	v_cndmask_b32_e32 v3, v3, v22, vcc
	v_div_scale_f64 v[11:12], s[4:5], v[3:4], v[3:4], v[1:2]
	v_div_scale_f64 v[18:19], vcc, v[1:2], v[3:4], v[1:2]
	v_rcp_f64_e32 v[14:15], v[11:12]
	v_fma_f64 v[16:17], -v[11:12], v[14:15], 1.0
	v_fma_f64 v[14:15], v[14:15], v[16:17], v[14:15]
	v_fma_f64 v[16:17], -v[11:12], v[14:15], 1.0
	v_fma_f64 v[14:15], v[14:15], v[16:17], v[14:15]
	v_mul_f64 v[16:17], v[18:19], v[14:15]
	v_fma_f64 v[11:12], -v[11:12], v[16:17], v[18:19]
	v_div_fmas_f64 v[11:12], v[11:12], v[14:15], v[16:17]
	v_div_fixup_f64 v[11:12], v[11:12], v[3:4], v[1:2]
.LBB5_19:
	s_or_b64 exec, exec, s[14:15]
	s_add_u32 s4, s8, s12
	s_addc_u32 s5, s9, s13
	v_mov_b32_e32 v1, s5
	v_add_co_u32_e32 v2, vcc, s4, v13
	v_addc_co_u32_e32 v3, vcc, 0, v1, vcc
	v_add_co_u32_e32 v1, vcc, 0x1000, v2
	v_addc_co_u32_e32 v2, vcc, 0, v3, vcc
	global_store_dwordx4 v13, v[5:8], s[4:5]
	global_store_dwordx4 v[1:2], v[9:12], off
	s_branch .LBB5_2
.LBB5_20:
	s_getpc_b64 s[4:5]
	s_add_u32 s4, s4, _ZN2at6native25elementwise_kernel_helperILb0EZZZNS0_12_GLOBAL__N_130modified_bessel_i0_kernel_cudaERNS_18TensorIteratorBaseEENKUlvE_clEvENKUlvE_clEvEUldE_NS0_6memory8policies11unroll_baseILi256ESt5arrayIPcLm2EE23TrivialOffsetCalculatorILi1EjESF_NS8_15LoadWithoutCastENS8_16StoreWithoutCastELi4ELi1EEEEEvT0_T1_@rel32@lo+4
	s_addc_u32 s5, s5, _ZN2at6native25elementwise_kernel_helperILb0EZZZNS0_12_GLOBAL__N_130modified_bessel_i0_kernel_cudaERNS_18TensorIteratorBaseEENKUlvE_clEvENKUlvE_clEvEUldE_NS0_6memory8policies11unroll_baseILi256ESt5arrayIPcLm2EE23TrivialOffsetCalculatorILi1EjESF_NS8_15LoadWithoutCastENS8_16StoreWithoutCastELi4ELi1EEEEEvT0_T1_@rel32@hi+12
	s_mov_b32 s12, s6
	v_mov_b32_e32 v31, v0
	v_mov_b32_e32 v0, s8
	v_mov_b32_e32 v1, s9
	v_mov_b32_e32 v2, s10
	v_mov_b32_e32 v3, s11
	v_mov_b32_e32 v4, s7
	s_swappc_b64 s[30:31], s[4:5]
	s_endpgm
	.section	.rodata,"a",@progbits
	.p2align	6, 0x0
	.amdhsa_kernel _ZN2at6native29vectorized_elementwise_kernelILi2EZZZNS0_12_GLOBAL__N_130modified_bessel_i0_kernel_cudaERNS_18TensorIteratorBaseEENKUlvE_clEvENKUlvE_clEvEUldE_St5arrayIPcLm2EEEEviT0_T1_
		.amdhsa_group_segment_fixed_size 0
		.amdhsa_private_segment_fixed_size 0
		.amdhsa_kernarg_size 24
		.amdhsa_user_sgpr_count 6
		.amdhsa_user_sgpr_private_segment_buffer 1
		.amdhsa_user_sgpr_dispatch_ptr 0
		.amdhsa_user_sgpr_queue_ptr 0
		.amdhsa_user_sgpr_kernarg_segment_ptr 1
		.amdhsa_user_sgpr_dispatch_id 0
		.amdhsa_user_sgpr_flat_scratch_init 0
		.amdhsa_user_sgpr_private_segment_size 0
		.amdhsa_uses_dynamic_stack 0
		.amdhsa_system_sgpr_private_segment_wavefront_offset 0
		.amdhsa_system_sgpr_workgroup_id_x 1
		.amdhsa_system_sgpr_workgroup_id_y 0
		.amdhsa_system_sgpr_workgroup_id_z 0
		.amdhsa_system_sgpr_workgroup_info 0
		.amdhsa_system_vgpr_workitem_id 0
		.amdhsa_next_free_vgpr 32
		.amdhsa_next_free_sgpr 33
		.amdhsa_reserve_vcc 1
		.amdhsa_reserve_flat_scratch 0
		.amdhsa_float_round_mode_32 0
		.amdhsa_float_round_mode_16_64 0
		.amdhsa_float_denorm_mode_32 3
		.amdhsa_float_denorm_mode_16_64 3
		.amdhsa_dx10_clamp 1
		.amdhsa_ieee_mode 1
		.amdhsa_fp16_overflow 0
		.amdhsa_exception_fp_ieee_invalid_op 0
		.amdhsa_exception_fp_denorm_src 0
		.amdhsa_exception_fp_ieee_div_zero 0
		.amdhsa_exception_fp_ieee_overflow 0
		.amdhsa_exception_fp_ieee_underflow 0
		.amdhsa_exception_fp_ieee_inexact 0
		.amdhsa_exception_int_div_zero 0
	.end_amdhsa_kernel
	.section	.text._ZN2at6native29vectorized_elementwise_kernelILi2EZZZNS0_12_GLOBAL__N_130modified_bessel_i0_kernel_cudaERNS_18TensorIteratorBaseEENKUlvE_clEvENKUlvE_clEvEUldE_St5arrayIPcLm2EEEEviT0_T1_,"axG",@progbits,_ZN2at6native29vectorized_elementwise_kernelILi2EZZZNS0_12_GLOBAL__N_130modified_bessel_i0_kernel_cudaERNS_18TensorIteratorBaseEENKUlvE_clEvENKUlvE_clEvEUldE_St5arrayIPcLm2EEEEviT0_T1_,comdat
.Lfunc_end5:
	.size	_ZN2at6native29vectorized_elementwise_kernelILi2EZZZNS0_12_GLOBAL__N_130modified_bessel_i0_kernel_cudaERNS_18TensorIteratorBaseEENKUlvE_clEvENKUlvE_clEvEUldE_St5arrayIPcLm2EEEEviT0_T1_, .Lfunc_end5-_ZN2at6native29vectorized_elementwise_kernelILi2EZZZNS0_12_GLOBAL__N_130modified_bessel_i0_kernel_cudaERNS_18TensorIteratorBaseEENKUlvE_clEvENKUlvE_clEvEUldE_St5arrayIPcLm2EEEEviT0_T1_
                                        ; -- End function
	.set _ZN2at6native29vectorized_elementwise_kernelILi2EZZZNS0_12_GLOBAL__N_130modified_bessel_i0_kernel_cudaERNS_18TensorIteratorBaseEENKUlvE_clEvENKUlvE_clEvEUldE_St5arrayIPcLm2EEEEviT0_T1_.num_vgpr, max(32, .L_ZN2at6native25elementwise_kernel_helperILb0EZZZNS0_12_GLOBAL__N_130modified_bessel_i0_kernel_cudaERNS_18TensorIteratorBaseEENKUlvE_clEvENKUlvE_clEvEUldE_NS0_6memory8policies11unroll_baseILi256ESt5arrayIPcLm2EE23TrivialOffsetCalculatorILi1EjESF_NS8_15LoadWithoutCastENS8_16StoreWithoutCastELi4ELi1EEEEEvT0_T1_.num_vgpr)
	.set _ZN2at6native29vectorized_elementwise_kernelILi2EZZZNS0_12_GLOBAL__N_130modified_bessel_i0_kernel_cudaERNS_18TensorIteratorBaseEENKUlvE_clEvENKUlvE_clEvEUldE_St5arrayIPcLm2EEEEviT0_T1_.num_agpr, max(0, .L_ZN2at6native25elementwise_kernel_helperILb0EZZZNS0_12_GLOBAL__N_130modified_bessel_i0_kernel_cudaERNS_18TensorIteratorBaseEENKUlvE_clEvENKUlvE_clEvEUldE_NS0_6memory8policies11unroll_baseILi256ESt5arrayIPcLm2EE23TrivialOffsetCalculatorILi1EjESF_NS8_15LoadWithoutCastENS8_16StoreWithoutCastELi4ELi1EEEEEvT0_T1_.num_agpr)
	.set _ZN2at6native29vectorized_elementwise_kernelILi2EZZZNS0_12_GLOBAL__N_130modified_bessel_i0_kernel_cudaERNS_18TensorIteratorBaseEENKUlvE_clEvENKUlvE_clEvEUldE_St5arrayIPcLm2EEEEviT0_T1_.numbered_sgpr, max(33, .L_ZN2at6native25elementwise_kernel_helperILb0EZZZNS0_12_GLOBAL__N_130modified_bessel_i0_kernel_cudaERNS_18TensorIteratorBaseEENKUlvE_clEvENKUlvE_clEvEUldE_NS0_6memory8policies11unroll_baseILi256ESt5arrayIPcLm2EE23TrivialOffsetCalculatorILi1EjESF_NS8_15LoadWithoutCastENS8_16StoreWithoutCastELi4ELi1EEEEEvT0_T1_.numbered_sgpr)
	.set _ZN2at6native29vectorized_elementwise_kernelILi2EZZZNS0_12_GLOBAL__N_130modified_bessel_i0_kernel_cudaERNS_18TensorIteratorBaseEENKUlvE_clEvENKUlvE_clEvEUldE_St5arrayIPcLm2EEEEviT0_T1_.num_named_barrier, max(0, .L_ZN2at6native25elementwise_kernel_helperILb0EZZZNS0_12_GLOBAL__N_130modified_bessel_i0_kernel_cudaERNS_18TensorIteratorBaseEENKUlvE_clEvENKUlvE_clEvEUldE_NS0_6memory8policies11unroll_baseILi256ESt5arrayIPcLm2EE23TrivialOffsetCalculatorILi1EjESF_NS8_15LoadWithoutCastENS8_16StoreWithoutCastELi4ELi1EEEEEvT0_T1_.num_named_barrier)
	.set _ZN2at6native29vectorized_elementwise_kernelILi2EZZZNS0_12_GLOBAL__N_130modified_bessel_i0_kernel_cudaERNS_18TensorIteratorBaseEENKUlvE_clEvENKUlvE_clEvEUldE_St5arrayIPcLm2EEEEviT0_T1_.private_seg_size, 0+max(.L_ZN2at6native25elementwise_kernel_helperILb0EZZZNS0_12_GLOBAL__N_130modified_bessel_i0_kernel_cudaERNS_18TensorIteratorBaseEENKUlvE_clEvENKUlvE_clEvEUldE_NS0_6memory8policies11unroll_baseILi256ESt5arrayIPcLm2EE23TrivialOffsetCalculatorILi1EjESF_NS8_15LoadWithoutCastENS8_16StoreWithoutCastELi4ELi1EEEEEvT0_T1_.private_seg_size)
	.set _ZN2at6native29vectorized_elementwise_kernelILi2EZZZNS0_12_GLOBAL__N_130modified_bessel_i0_kernel_cudaERNS_18TensorIteratorBaseEENKUlvE_clEvENKUlvE_clEvEUldE_St5arrayIPcLm2EEEEviT0_T1_.uses_vcc, or(1, .L_ZN2at6native25elementwise_kernel_helperILb0EZZZNS0_12_GLOBAL__N_130modified_bessel_i0_kernel_cudaERNS_18TensorIteratorBaseEENKUlvE_clEvENKUlvE_clEvEUldE_NS0_6memory8policies11unroll_baseILi256ESt5arrayIPcLm2EE23TrivialOffsetCalculatorILi1EjESF_NS8_15LoadWithoutCastENS8_16StoreWithoutCastELi4ELi1EEEEEvT0_T1_.uses_vcc)
	.set _ZN2at6native29vectorized_elementwise_kernelILi2EZZZNS0_12_GLOBAL__N_130modified_bessel_i0_kernel_cudaERNS_18TensorIteratorBaseEENKUlvE_clEvENKUlvE_clEvEUldE_St5arrayIPcLm2EEEEviT0_T1_.uses_flat_scratch, or(0, .L_ZN2at6native25elementwise_kernel_helperILb0EZZZNS0_12_GLOBAL__N_130modified_bessel_i0_kernel_cudaERNS_18TensorIteratorBaseEENKUlvE_clEvENKUlvE_clEvEUldE_NS0_6memory8policies11unroll_baseILi256ESt5arrayIPcLm2EE23TrivialOffsetCalculatorILi1EjESF_NS8_15LoadWithoutCastENS8_16StoreWithoutCastELi4ELi1EEEEEvT0_T1_.uses_flat_scratch)
	.set _ZN2at6native29vectorized_elementwise_kernelILi2EZZZNS0_12_GLOBAL__N_130modified_bessel_i0_kernel_cudaERNS_18TensorIteratorBaseEENKUlvE_clEvENKUlvE_clEvEUldE_St5arrayIPcLm2EEEEviT0_T1_.has_dyn_sized_stack, or(0, .L_ZN2at6native25elementwise_kernel_helperILb0EZZZNS0_12_GLOBAL__N_130modified_bessel_i0_kernel_cudaERNS_18TensorIteratorBaseEENKUlvE_clEvENKUlvE_clEvEUldE_NS0_6memory8policies11unroll_baseILi256ESt5arrayIPcLm2EE23TrivialOffsetCalculatorILi1EjESF_NS8_15LoadWithoutCastENS8_16StoreWithoutCastELi4ELi1EEEEEvT0_T1_.has_dyn_sized_stack)
	.set _ZN2at6native29vectorized_elementwise_kernelILi2EZZZNS0_12_GLOBAL__N_130modified_bessel_i0_kernel_cudaERNS_18TensorIteratorBaseEENKUlvE_clEvENKUlvE_clEvEUldE_St5arrayIPcLm2EEEEviT0_T1_.has_recursion, or(0, .L_ZN2at6native25elementwise_kernel_helperILb0EZZZNS0_12_GLOBAL__N_130modified_bessel_i0_kernel_cudaERNS_18TensorIteratorBaseEENKUlvE_clEvENKUlvE_clEvEUldE_NS0_6memory8policies11unroll_baseILi256ESt5arrayIPcLm2EE23TrivialOffsetCalculatorILi1EjESF_NS8_15LoadWithoutCastENS8_16StoreWithoutCastELi4ELi1EEEEEvT0_T1_.has_recursion)
	.set _ZN2at6native29vectorized_elementwise_kernelILi2EZZZNS0_12_GLOBAL__N_130modified_bessel_i0_kernel_cudaERNS_18TensorIteratorBaseEENKUlvE_clEvENKUlvE_clEvEUldE_St5arrayIPcLm2EEEEviT0_T1_.has_indirect_call, or(0, .L_ZN2at6native25elementwise_kernel_helperILb0EZZZNS0_12_GLOBAL__N_130modified_bessel_i0_kernel_cudaERNS_18TensorIteratorBaseEENKUlvE_clEvENKUlvE_clEvEUldE_NS0_6memory8policies11unroll_baseILi256ESt5arrayIPcLm2EE23TrivialOffsetCalculatorILi1EjESF_NS8_15LoadWithoutCastENS8_16StoreWithoutCastELi4ELi1EEEEEvT0_T1_.has_indirect_call)
	.section	.AMDGPU.csdata,"",@progbits
; Kernel info:
; codeLenInByte = 11792
; TotalNumSgprs: 37
; NumVgprs: 32
; ScratchSize: 0
; MemoryBound: 0
; FloatMode: 240
; IeeeMode: 1
; LDSByteSize: 0 bytes/workgroup (compile time only)
; SGPRBlocks: 4
; VGPRBlocks: 7
; NumSGPRsForWavesPerEU: 37
; NumVGPRsForWavesPerEU: 32
; Occupancy: 8
; WaveLimiterHint : 1
; COMPUTE_PGM_RSRC2:SCRATCH_EN: 0
; COMPUTE_PGM_RSRC2:USER_SGPR: 6
; COMPUTE_PGM_RSRC2:TRAP_HANDLER: 0
; COMPUTE_PGM_RSRC2:TGID_X_EN: 1
; COMPUTE_PGM_RSRC2:TGID_Y_EN: 0
; COMPUTE_PGM_RSRC2:TGID_Z_EN: 0
; COMPUTE_PGM_RSRC2:TIDIG_COMP_CNT: 0
	.section	.text._ZN2at6native27unrolled_elementwise_kernelIZZZNS0_12_GLOBAL__N_130modified_bessel_i0_kernel_cudaERNS_18TensorIteratorBaseEENKUlvE_clEvENKUlvE_clEvEUldE_St5arrayIPcLm2EELi4E23TrivialOffsetCalculatorILi1EjESC_NS0_6memory15LoadWithoutCastENSD_16StoreWithoutCastEEEviT_T0_T2_T3_T4_T5_,"axG",@progbits,_ZN2at6native27unrolled_elementwise_kernelIZZZNS0_12_GLOBAL__N_130modified_bessel_i0_kernel_cudaERNS_18TensorIteratorBaseEENKUlvE_clEvENKUlvE_clEvEUldE_St5arrayIPcLm2EELi4E23TrivialOffsetCalculatorILi1EjESC_NS0_6memory15LoadWithoutCastENSD_16StoreWithoutCastEEEviT_T0_T2_T3_T4_T5_,comdat
	.globl	_ZN2at6native27unrolled_elementwise_kernelIZZZNS0_12_GLOBAL__N_130modified_bessel_i0_kernel_cudaERNS_18TensorIteratorBaseEENKUlvE_clEvENKUlvE_clEvEUldE_St5arrayIPcLm2EELi4E23TrivialOffsetCalculatorILi1EjESC_NS0_6memory15LoadWithoutCastENSD_16StoreWithoutCastEEEviT_T0_T2_T3_T4_T5_ ; -- Begin function _ZN2at6native27unrolled_elementwise_kernelIZZZNS0_12_GLOBAL__N_130modified_bessel_i0_kernel_cudaERNS_18TensorIteratorBaseEENKUlvE_clEvENKUlvE_clEvEUldE_St5arrayIPcLm2EELi4E23TrivialOffsetCalculatorILi1EjESC_NS0_6memory15LoadWithoutCastENSD_16StoreWithoutCastEEEviT_T0_T2_T3_T4_T5_
	.p2align	8
	.type	_ZN2at6native27unrolled_elementwise_kernelIZZZNS0_12_GLOBAL__N_130modified_bessel_i0_kernel_cudaERNS_18TensorIteratorBaseEENKUlvE_clEvENKUlvE_clEvEUldE_St5arrayIPcLm2EELi4E23TrivialOffsetCalculatorILi1EjESC_NS0_6memory15LoadWithoutCastENSD_16StoreWithoutCastEEEviT_T0_T2_T3_T4_T5_,@function
_ZN2at6native27unrolled_elementwise_kernelIZZZNS0_12_GLOBAL__N_130modified_bessel_i0_kernel_cudaERNS_18TensorIteratorBaseEENKUlvE_clEvENKUlvE_clEvEUldE_St5arrayIPcLm2EELi4E23TrivialOffsetCalculatorILi1EjESC_NS0_6memory15LoadWithoutCastENSD_16StoreWithoutCastEEEviT_T0_T2_T3_T4_T5_: ; @_ZN2at6native27unrolled_elementwise_kernelIZZZNS0_12_GLOBAL__N_130modified_bessel_i0_kernel_cudaERNS_18TensorIteratorBaseEENKUlvE_clEvENKUlvE_clEvEUldE_St5arrayIPcLm2EELi4E23TrivialOffsetCalculatorILi1EjESC_NS0_6memory15LoadWithoutCastENSD_16StoreWithoutCastEEEviT_T0_T2_T3_T4_T5_
; %bb.0:
	s_add_u32 s0, s0, s7
	s_load_dword s7, s[4:5], 0x0
	s_load_dwordx4 s[8:11], s[4:5], 0x8
	s_addc_u32 s1, s1, 0
	s_lshl_b32 s4, s6, 10
	s_mov_b32 s12, s6
	s_waitcnt lgkmcnt(0)
	s_sub_i32 s7, s7, s4
	s_getpc_b64 s[4:5]
	s_add_u32 s4, s4, _ZN2at6native25elementwise_kernel_helperILb0EZZZNS0_12_GLOBAL__N_130modified_bessel_i0_kernel_cudaERNS_18TensorIteratorBaseEENKUlvE_clEvENKUlvE_clEvEUldE_NS0_6memory8policies11unroll_baseILi256ESt5arrayIPcLm2EE23TrivialOffsetCalculatorILi1EjESF_NS8_15LoadWithoutCastENS8_16StoreWithoutCastELi4ELi1EEEEEvT0_T1_@rel32@lo+4
	s_addc_u32 s5, s5, _ZN2at6native25elementwise_kernel_helperILb0EZZZNS0_12_GLOBAL__N_130modified_bessel_i0_kernel_cudaERNS_18TensorIteratorBaseEENKUlvE_clEvENKUlvE_clEvEUldE_NS0_6memory8policies11unroll_baseILi256ESt5arrayIPcLm2EE23TrivialOffsetCalculatorILi1EjESF_NS8_15LoadWithoutCastENS8_16StoreWithoutCastELi4ELi1EEEEEvT0_T1_@rel32@hi+12
	v_mov_b32_e32 v31, v0
	v_mov_b32_e32 v0, s8
	;; [unrolled: 1-line block ×6, first 2 shown]
	s_mov_b32 s32, 0
	s_swappc_b64 s[30:31], s[4:5]
	s_endpgm
	.section	.rodata,"a",@progbits
	.p2align	6, 0x0
	.amdhsa_kernel _ZN2at6native27unrolled_elementwise_kernelIZZZNS0_12_GLOBAL__N_130modified_bessel_i0_kernel_cudaERNS_18TensorIteratorBaseEENKUlvE_clEvENKUlvE_clEvEUldE_St5arrayIPcLm2EELi4E23TrivialOffsetCalculatorILi1EjESC_NS0_6memory15LoadWithoutCastENSD_16StoreWithoutCastEEEviT_T0_T2_T3_T4_T5_
		.amdhsa_group_segment_fixed_size 0
		.amdhsa_private_segment_fixed_size 0
		.amdhsa_kernarg_size 28
		.amdhsa_user_sgpr_count 6
		.amdhsa_user_sgpr_private_segment_buffer 1
		.amdhsa_user_sgpr_dispatch_ptr 0
		.amdhsa_user_sgpr_queue_ptr 0
		.amdhsa_user_sgpr_kernarg_segment_ptr 1
		.amdhsa_user_sgpr_dispatch_id 0
		.amdhsa_user_sgpr_flat_scratch_init 0
		.amdhsa_user_sgpr_private_segment_size 0
		.amdhsa_uses_dynamic_stack 0
		.amdhsa_system_sgpr_private_segment_wavefront_offset 0
		.amdhsa_system_sgpr_workgroup_id_x 1
		.amdhsa_system_sgpr_workgroup_id_y 0
		.amdhsa_system_sgpr_workgroup_id_z 0
		.amdhsa_system_sgpr_workgroup_info 0
		.amdhsa_system_vgpr_workitem_id 0
		.amdhsa_next_free_vgpr 32
		.amdhsa_next_free_sgpr 33
		.amdhsa_reserve_vcc 1
		.amdhsa_reserve_flat_scratch 0
		.amdhsa_float_round_mode_32 0
		.amdhsa_float_round_mode_16_64 0
		.amdhsa_float_denorm_mode_32 3
		.amdhsa_float_denorm_mode_16_64 3
		.amdhsa_dx10_clamp 1
		.amdhsa_ieee_mode 1
		.amdhsa_fp16_overflow 0
		.amdhsa_exception_fp_ieee_invalid_op 0
		.amdhsa_exception_fp_denorm_src 0
		.amdhsa_exception_fp_ieee_div_zero 0
		.amdhsa_exception_fp_ieee_overflow 0
		.amdhsa_exception_fp_ieee_underflow 0
		.amdhsa_exception_fp_ieee_inexact 0
		.amdhsa_exception_int_div_zero 0
	.end_amdhsa_kernel
	.section	.text._ZN2at6native27unrolled_elementwise_kernelIZZZNS0_12_GLOBAL__N_130modified_bessel_i0_kernel_cudaERNS_18TensorIteratorBaseEENKUlvE_clEvENKUlvE_clEvEUldE_St5arrayIPcLm2EELi4E23TrivialOffsetCalculatorILi1EjESC_NS0_6memory15LoadWithoutCastENSD_16StoreWithoutCastEEEviT_T0_T2_T3_T4_T5_,"axG",@progbits,_ZN2at6native27unrolled_elementwise_kernelIZZZNS0_12_GLOBAL__N_130modified_bessel_i0_kernel_cudaERNS_18TensorIteratorBaseEENKUlvE_clEvENKUlvE_clEvEUldE_St5arrayIPcLm2EELi4E23TrivialOffsetCalculatorILi1EjESC_NS0_6memory15LoadWithoutCastENSD_16StoreWithoutCastEEEviT_T0_T2_T3_T4_T5_,comdat
.Lfunc_end6:
	.size	_ZN2at6native27unrolled_elementwise_kernelIZZZNS0_12_GLOBAL__N_130modified_bessel_i0_kernel_cudaERNS_18TensorIteratorBaseEENKUlvE_clEvENKUlvE_clEvEUldE_St5arrayIPcLm2EELi4E23TrivialOffsetCalculatorILi1EjESC_NS0_6memory15LoadWithoutCastENSD_16StoreWithoutCastEEEviT_T0_T2_T3_T4_T5_, .Lfunc_end6-_ZN2at6native27unrolled_elementwise_kernelIZZZNS0_12_GLOBAL__N_130modified_bessel_i0_kernel_cudaERNS_18TensorIteratorBaseEENKUlvE_clEvENKUlvE_clEvEUldE_St5arrayIPcLm2EELi4E23TrivialOffsetCalculatorILi1EjESC_NS0_6memory15LoadWithoutCastENSD_16StoreWithoutCastEEEviT_T0_T2_T3_T4_T5_
                                        ; -- End function
	.set _ZN2at6native27unrolled_elementwise_kernelIZZZNS0_12_GLOBAL__N_130modified_bessel_i0_kernel_cudaERNS_18TensorIteratorBaseEENKUlvE_clEvENKUlvE_clEvEUldE_St5arrayIPcLm2EELi4E23TrivialOffsetCalculatorILi1EjESC_NS0_6memory15LoadWithoutCastENSD_16StoreWithoutCastEEEviT_T0_T2_T3_T4_T5_.num_vgpr, max(32, .L_ZN2at6native25elementwise_kernel_helperILb0EZZZNS0_12_GLOBAL__N_130modified_bessel_i0_kernel_cudaERNS_18TensorIteratorBaseEENKUlvE_clEvENKUlvE_clEvEUldE_NS0_6memory8policies11unroll_baseILi256ESt5arrayIPcLm2EE23TrivialOffsetCalculatorILi1EjESF_NS8_15LoadWithoutCastENS8_16StoreWithoutCastELi4ELi1EEEEEvT0_T1_.num_vgpr)
	.set _ZN2at6native27unrolled_elementwise_kernelIZZZNS0_12_GLOBAL__N_130modified_bessel_i0_kernel_cudaERNS_18TensorIteratorBaseEENKUlvE_clEvENKUlvE_clEvEUldE_St5arrayIPcLm2EELi4E23TrivialOffsetCalculatorILi1EjESC_NS0_6memory15LoadWithoutCastENSD_16StoreWithoutCastEEEviT_T0_T2_T3_T4_T5_.num_agpr, max(0, .L_ZN2at6native25elementwise_kernel_helperILb0EZZZNS0_12_GLOBAL__N_130modified_bessel_i0_kernel_cudaERNS_18TensorIteratorBaseEENKUlvE_clEvENKUlvE_clEvEUldE_NS0_6memory8policies11unroll_baseILi256ESt5arrayIPcLm2EE23TrivialOffsetCalculatorILi1EjESF_NS8_15LoadWithoutCastENS8_16StoreWithoutCastELi4ELi1EEEEEvT0_T1_.num_agpr)
	.set _ZN2at6native27unrolled_elementwise_kernelIZZZNS0_12_GLOBAL__N_130modified_bessel_i0_kernel_cudaERNS_18TensorIteratorBaseEENKUlvE_clEvENKUlvE_clEvEUldE_St5arrayIPcLm2EELi4E23TrivialOffsetCalculatorILi1EjESC_NS0_6memory15LoadWithoutCastENSD_16StoreWithoutCastEEEviT_T0_T2_T3_T4_T5_.numbered_sgpr, max(33, .L_ZN2at6native25elementwise_kernel_helperILb0EZZZNS0_12_GLOBAL__N_130modified_bessel_i0_kernel_cudaERNS_18TensorIteratorBaseEENKUlvE_clEvENKUlvE_clEvEUldE_NS0_6memory8policies11unroll_baseILi256ESt5arrayIPcLm2EE23TrivialOffsetCalculatorILi1EjESF_NS8_15LoadWithoutCastENS8_16StoreWithoutCastELi4ELi1EEEEEvT0_T1_.numbered_sgpr)
	.set _ZN2at6native27unrolled_elementwise_kernelIZZZNS0_12_GLOBAL__N_130modified_bessel_i0_kernel_cudaERNS_18TensorIteratorBaseEENKUlvE_clEvENKUlvE_clEvEUldE_St5arrayIPcLm2EELi4E23TrivialOffsetCalculatorILi1EjESC_NS0_6memory15LoadWithoutCastENSD_16StoreWithoutCastEEEviT_T0_T2_T3_T4_T5_.num_named_barrier, max(0, .L_ZN2at6native25elementwise_kernel_helperILb0EZZZNS0_12_GLOBAL__N_130modified_bessel_i0_kernel_cudaERNS_18TensorIteratorBaseEENKUlvE_clEvENKUlvE_clEvEUldE_NS0_6memory8policies11unroll_baseILi256ESt5arrayIPcLm2EE23TrivialOffsetCalculatorILi1EjESF_NS8_15LoadWithoutCastENS8_16StoreWithoutCastELi4ELi1EEEEEvT0_T1_.num_named_barrier)
	.set _ZN2at6native27unrolled_elementwise_kernelIZZZNS0_12_GLOBAL__N_130modified_bessel_i0_kernel_cudaERNS_18TensorIteratorBaseEENKUlvE_clEvENKUlvE_clEvEUldE_St5arrayIPcLm2EELi4E23TrivialOffsetCalculatorILi1EjESC_NS0_6memory15LoadWithoutCastENSD_16StoreWithoutCastEEEviT_T0_T2_T3_T4_T5_.private_seg_size, 0+max(.L_ZN2at6native25elementwise_kernel_helperILb0EZZZNS0_12_GLOBAL__N_130modified_bessel_i0_kernel_cudaERNS_18TensorIteratorBaseEENKUlvE_clEvENKUlvE_clEvEUldE_NS0_6memory8policies11unroll_baseILi256ESt5arrayIPcLm2EE23TrivialOffsetCalculatorILi1EjESF_NS8_15LoadWithoutCastENS8_16StoreWithoutCastELi4ELi1EEEEEvT0_T1_.private_seg_size)
	.set _ZN2at6native27unrolled_elementwise_kernelIZZZNS0_12_GLOBAL__N_130modified_bessel_i0_kernel_cudaERNS_18TensorIteratorBaseEENKUlvE_clEvENKUlvE_clEvEUldE_St5arrayIPcLm2EELi4E23TrivialOffsetCalculatorILi1EjESC_NS0_6memory15LoadWithoutCastENSD_16StoreWithoutCastEEEviT_T0_T2_T3_T4_T5_.uses_vcc, or(1, .L_ZN2at6native25elementwise_kernel_helperILb0EZZZNS0_12_GLOBAL__N_130modified_bessel_i0_kernel_cudaERNS_18TensorIteratorBaseEENKUlvE_clEvENKUlvE_clEvEUldE_NS0_6memory8policies11unroll_baseILi256ESt5arrayIPcLm2EE23TrivialOffsetCalculatorILi1EjESF_NS8_15LoadWithoutCastENS8_16StoreWithoutCastELi4ELi1EEEEEvT0_T1_.uses_vcc)
	.set _ZN2at6native27unrolled_elementwise_kernelIZZZNS0_12_GLOBAL__N_130modified_bessel_i0_kernel_cudaERNS_18TensorIteratorBaseEENKUlvE_clEvENKUlvE_clEvEUldE_St5arrayIPcLm2EELi4E23TrivialOffsetCalculatorILi1EjESC_NS0_6memory15LoadWithoutCastENSD_16StoreWithoutCastEEEviT_T0_T2_T3_T4_T5_.uses_flat_scratch, or(0, .L_ZN2at6native25elementwise_kernel_helperILb0EZZZNS0_12_GLOBAL__N_130modified_bessel_i0_kernel_cudaERNS_18TensorIteratorBaseEENKUlvE_clEvENKUlvE_clEvEUldE_NS0_6memory8policies11unroll_baseILi256ESt5arrayIPcLm2EE23TrivialOffsetCalculatorILi1EjESF_NS8_15LoadWithoutCastENS8_16StoreWithoutCastELi4ELi1EEEEEvT0_T1_.uses_flat_scratch)
	.set _ZN2at6native27unrolled_elementwise_kernelIZZZNS0_12_GLOBAL__N_130modified_bessel_i0_kernel_cudaERNS_18TensorIteratorBaseEENKUlvE_clEvENKUlvE_clEvEUldE_St5arrayIPcLm2EELi4E23TrivialOffsetCalculatorILi1EjESC_NS0_6memory15LoadWithoutCastENSD_16StoreWithoutCastEEEviT_T0_T2_T3_T4_T5_.has_dyn_sized_stack, or(0, .L_ZN2at6native25elementwise_kernel_helperILb0EZZZNS0_12_GLOBAL__N_130modified_bessel_i0_kernel_cudaERNS_18TensorIteratorBaseEENKUlvE_clEvENKUlvE_clEvEUldE_NS0_6memory8policies11unroll_baseILi256ESt5arrayIPcLm2EE23TrivialOffsetCalculatorILi1EjESF_NS8_15LoadWithoutCastENS8_16StoreWithoutCastELi4ELi1EEEEEvT0_T1_.has_dyn_sized_stack)
	.set _ZN2at6native27unrolled_elementwise_kernelIZZZNS0_12_GLOBAL__N_130modified_bessel_i0_kernel_cudaERNS_18TensorIteratorBaseEENKUlvE_clEvENKUlvE_clEvEUldE_St5arrayIPcLm2EELi4E23TrivialOffsetCalculatorILi1EjESC_NS0_6memory15LoadWithoutCastENSD_16StoreWithoutCastEEEviT_T0_T2_T3_T4_T5_.has_recursion, or(0, .L_ZN2at6native25elementwise_kernel_helperILb0EZZZNS0_12_GLOBAL__N_130modified_bessel_i0_kernel_cudaERNS_18TensorIteratorBaseEENKUlvE_clEvENKUlvE_clEvEUldE_NS0_6memory8policies11unroll_baseILi256ESt5arrayIPcLm2EE23TrivialOffsetCalculatorILi1EjESF_NS8_15LoadWithoutCastENS8_16StoreWithoutCastELi4ELi1EEEEEvT0_T1_.has_recursion)
	.set _ZN2at6native27unrolled_elementwise_kernelIZZZNS0_12_GLOBAL__N_130modified_bessel_i0_kernel_cudaERNS_18TensorIteratorBaseEENKUlvE_clEvENKUlvE_clEvEUldE_St5arrayIPcLm2EELi4E23TrivialOffsetCalculatorILi1EjESC_NS0_6memory15LoadWithoutCastENSD_16StoreWithoutCastEEEviT_T0_T2_T3_T4_T5_.has_indirect_call, or(0, .L_ZN2at6native25elementwise_kernel_helperILb0EZZZNS0_12_GLOBAL__N_130modified_bessel_i0_kernel_cudaERNS_18TensorIteratorBaseEENKUlvE_clEvENKUlvE_clEvEUldE_NS0_6memory8policies11unroll_baseILi256ESt5arrayIPcLm2EE23TrivialOffsetCalculatorILi1EjESF_NS8_15LoadWithoutCastENS8_16StoreWithoutCastELi4ELi1EEEEEvT0_T1_.has_indirect_call)
	.section	.AMDGPU.csdata,"",@progbits
; Kernel info:
; codeLenInByte = 96
; TotalNumSgprs: 37
; NumVgprs: 32
; ScratchSize: 0
; MemoryBound: 0
; FloatMode: 240
; IeeeMode: 1
; LDSByteSize: 0 bytes/workgroup (compile time only)
; SGPRBlocks: 4
; VGPRBlocks: 7
; NumSGPRsForWavesPerEU: 37
; NumVGPRsForWavesPerEU: 32
; Occupancy: 8
; WaveLimiterHint : 0
; COMPUTE_PGM_RSRC2:SCRATCH_EN: 0
; COMPUTE_PGM_RSRC2:USER_SGPR: 6
; COMPUTE_PGM_RSRC2:TRAP_HANDLER: 0
; COMPUTE_PGM_RSRC2:TGID_X_EN: 1
; COMPUTE_PGM_RSRC2:TGID_Y_EN: 0
; COMPUTE_PGM_RSRC2:TGID_Z_EN: 0
; COMPUTE_PGM_RSRC2:TIDIG_COMP_CNT: 0
	.section	.text._ZN2at6native32elementwise_kernel_manual_unrollILi128ELi4EZNS0_22gpu_kernel_impl_nocastIZZZNS0_12_GLOBAL__N_130modified_bessel_i0_kernel_cudaERNS_18TensorIteratorBaseEENKUlvE_clEvENKUlvE_clEvEUldE_EEvS5_RKT_EUlibE_EEviT1_,"axG",@progbits,_ZN2at6native32elementwise_kernel_manual_unrollILi128ELi4EZNS0_22gpu_kernel_impl_nocastIZZZNS0_12_GLOBAL__N_130modified_bessel_i0_kernel_cudaERNS_18TensorIteratorBaseEENKUlvE_clEvENKUlvE_clEvEUldE_EEvS5_RKT_EUlibE_EEviT1_,comdat
	.globl	_ZN2at6native32elementwise_kernel_manual_unrollILi128ELi4EZNS0_22gpu_kernel_impl_nocastIZZZNS0_12_GLOBAL__N_130modified_bessel_i0_kernel_cudaERNS_18TensorIteratorBaseEENKUlvE_clEvENKUlvE_clEvEUldE_EEvS5_RKT_EUlibE_EEviT1_ ; -- Begin function _ZN2at6native32elementwise_kernel_manual_unrollILi128ELi4EZNS0_22gpu_kernel_impl_nocastIZZZNS0_12_GLOBAL__N_130modified_bessel_i0_kernel_cudaERNS_18TensorIteratorBaseEENKUlvE_clEvENKUlvE_clEvEUldE_EEvS5_RKT_EUlibE_EEviT1_
	.p2align	8
	.type	_ZN2at6native32elementwise_kernel_manual_unrollILi128ELi4EZNS0_22gpu_kernel_impl_nocastIZZZNS0_12_GLOBAL__N_130modified_bessel_i0_kernel_cudaERNS_18TensorIteratorBaseEENKUlvE_clEvENKUlvE_clEvEUldE_EEvS5_RKT_EUlibE_EEviT1_,@function
_ZN2at6native32elementwise_kernel_manual_unrollILi128ELi4EZNS0_22gpu_kernel_impl_nocastIZZZNS0_12_GLOBAL__N_130modified_bessel_i0_kernel_cudaERNS_18TensorIteratorBaseEENKUlvE_clEvENKUlvE_clEvEUldE_EEvS5_RKT_EUlibE_EEviT1_: ; @_ZN2at6native32elementwise_kernel_manual_unrollILi128ELi4EZNS0_22gpu_kernel_impl_nocastIZZZNS0_12_GLOBAL__N_130modified_bessel_i0_kernel_cudaERNS_18TensorIteratorBaseEENKUlvE_clEvENKUlvE_clEvEUldE_EEvS5_RKT_EUlibE_EEviT1_
; %bb.0:
	s_load_dword s55, s[4:5], 0x0
	s_load_dword s33, s[4:5], 0x8
	s_add_u32 s34, s4, 8
	s_addc_u32 s35, s5, 0
	v_lshl_or_b32 v9, s6, 9, v0
	v_or_b32_e32 v12, 0x180, v9
	s_waitcnt lgkmcnt(0)
	s_add_i32 s54, s33, -1
	s_cmp_gt_u32 s54, 1
	v_cmp_le_i32_e32 vcc, s55, v12
	s_cselect_b64 s[36:37], -1, 0
	s_and_saveexec_b64 s[0:1], vcc
	s_xor_b64 s[38:39], exec, s[0:1]
	s_cbranch_execz .LBB7_7
; %bb.1:
	s_load_dwordx4 s[24:27], s[34:35], 0x4
	s_load_dwordx2 s[40:41], s[34:35], 0x14
	s_load_dwordx4 s[20:23], s[34:35], 0xc4
	s_load_dwordx4 s[16:19], s[34:35], 0x148
	s_cmp_lg_u32 s33, 0
	s_cselect_b64 s[46:47], -1, 0
	s_add_u32 s44, s34, 0xc4
	s_addc_u32 s45, s35, 0
	s_min_u32 s56, s54, 15
	s_cmp_gt_u32 s33, 1
	s_cselect_b64 s[42:43], -1, 0
	v_cmp_gt_i32_e32 vcc, s55, v9
	s_and_saveexec_b64 s[48:49], vcc
	s_cbranch_execz .LBB7_14
; %bb.2:
	s_andn2_b64 vcc, exec, s[36:37]
	s_cbranch_vccnz .LBB7_21
; %bb.3:
	s_andn2_b64 vcc, exec, s[46:47]
	s_cbranch_vccnz .LBB7_89
; %bb.4:
	s_add_i32 s58, s56, 1
	s_cmp_eq_u32 s54, 2
	s_cbranch_scc1 .LBB7_91
; %bb.5:
	s_and_b32 s57, s58, 28
	v_mov_b32_e32 v2, 0
	s_mov_b32 s59, 0
	s_mov_b64 s[50:51], s[34:35]
	s_mov_b64 s[52:53], s[44:45]
	v_mov_b32_e32 v0, 0
	v_mov_b32_e32 v1, v9
.LBB7_6:                                ; =>This Inner Loop Header: Depth=1
	s_load_dwordx8 s[8:15], s[50:51], 0x4
	s_load_dwordx4 s[28:31], s[50:51], 0x24
	s_load_dwordx8 s[0:7], s[52:53], 0x0
	s_add_u32 s50, s50, 48
	s_addc_u32 s51, s51, 0
	s_waitcnt lgkmcnt(0)
	v_mul_hi_u32 v3, s9, v1
	s_add_i32 s59, s59, 4
	s_add_u32 s52, s52, 32
	s_addc_u32 s53, s53, 0
	v_add_u32_e32 v3, v1, v3
	v_lshrrev_b32_e32 v3, s10, v3
	v_mul_lo_u32 v4, v3, s8
	v_mul_hi_u32 v5, s12, v3
	s_cmp_lg_u32 s57, s59
	v_sub_u32_e32 v1, v1, v4
	v_add_u32_e32 v4, v3, v5
	v_mul_lo_u32 v5, v1, s0
	v_mul_lo_u32 v6, v1, s1
	v_lshrrev_b32_e32 v1, s13, v4
	v_mul_lo_u32 v4, v1, s11
	v_mul_hi_u32 v7, s15, v1
	v_sub_u32_e32 v3, v3, v4
	v_add_u32_e32 v4, v1, v7
	v_lshrrev_b32_e32 v4, s28, v4
	v_mul_hi_u32 v8, s30, v4
	v_mul_lo_u32 v10, v4, s14
	v_mul_lo_u32 v7, v3, s2
	;; [unrolled: 1-line block ×3, first 2 shown]
	v_sub_u32_e32 v10, v1, v10
	v_add_u32_e32 v1, v4, v8
	v_lshrrev_b32_e32 v1, s31, v1
	v_mul_lo_u32 v8, v1, s29
	v_mul_lo_u32 v11, v10, s4
	;; [unrolled: 1-line block ×3, first 2 shown]
	v_add3_u32 v0, v5, v0, v7
	v_sub_u32_e32 v4, v4, v8
	v_mul_lo_u32 v8, v4, s6
	v_mul_lo_u32 v4, v4, s7
	v_add3_u32 v2, v6, v2, v3
	v_add3_u32 v0, v11, v0, v8
	;; [unrolled: 1-line block ×3, first 2 shown]
	s_cbranch_scc1 .LBB7_6
	s_branch .LBB7_92
.LBB7_7:
	s_andn2_saveexec_b64 s[0:1], s[38:39]
	s_cbranch_execz .LBB7_125
.LBB7_8:
	v_cndmask_b32_e64 v0, 0, 1, s[36:37]
	v_cmp_ne_u32_e64 s[0:1], 1, v0
	s_andn2_b64 vcc, exec, s[36:37]
	s_cbranch_vccnz .LBB7_20
; %bb.9:
	s_cmp_lg_u32 s33, 0
	s_waitcnt lgkmcnt(0)
	s_mov_b32 s26, 0
	s_cbranch_scc0 .LBB7_23
; %bb.10:
	s_min_u32 s27, s54, 15
	s_add_i32 s27, s27, 1
	s_cmp_eq_u32 s54, 2
	s_cbranch_scc1 .LBB7_24
; %bb.11:
	s_and_b32 s26, s27, 28
	s_add_u32 s2, s34, 0xc4
	s_addc_u32 s3, s35, 0
	v_mov_b32_e32 v7, 0
	s_mov_b32 s28, 0
	s_mov_b64 s[24:25], s[34:35]
	v_mov_b32_e32 v0, 0
	v_mov_b32_e32 v1, v9
.LBB7_12:                               ; =>This Inner Loop Header: Depth=1
	s_load_dwordx8 s[12:19], s[24:25], 0x4
	s_load_dwordx4 s[20:23], s[24:25], 0x24
	s_load_dwordx8 s[4:11], s[2:3], 0x0
	s_add_u32 s24, s24, 48
	s_addc_u32 s25, s25, 0
	s_waitcnt lgkmcnt(0)
	v_mul_hi_u32 v2, s13, v1
	s_add_i32 s28, s28, 4
	s_add_u32 s2, s2, 32
	s_addc_u32 s3, s3, 0
	v_add_u32_e32 v2, v1, v2
	v_lshrrev_b32_e32 v2, s14, v2
	v_mul_lo_u32 v3, v2, s12
	v_mul_hi_u32 v4, s16, v2
	s_cmp_lg_u32 s26, s28
	v_sub_u32_e32 v1, v1, v3
	v_add_u32_e32 v3, v2, v4
	v_mul_lo_u32 v4, v1, s4
	v_mul_lo_u32 v5, v1, s5
	v_lshrrev_b32_e32 v1, s17, v3
	v_mul_lo_u32 v3, v1, s15
	v_mul_hi_u32 v6, s19, v1
	v_sub_u32_e32 v2, v2, v3
	v_add_u32_e32 v3, v1, v6
	v_lshrrev_b32_e32 v3, s20, v3
	v_mul_hi_u32 v8, s22, v3
	v_mul_lo_u32 v10, v3, s18
	v_mul_lo_u32 v6, v2, s6
	;; [unrolled: 1-line block ×3, first 2 shown]
	v_sub_u32_e32 v10, v1, v10
	v_add_u32_e32 v1, v3, v8
	v_lshrrev_b32_e32 v1, s23, v1
	v_mul_lo_u32 v8, v1, s21
	v_mul_lo_u32 v11, v10, s8
	;; [unrolled: 1-line block ×3, first 2 shown]
	v_add3_u32 v0, v4, v0, v6
	v_sub_u32_e32 v3, v3, v8
	v_mul_lo_u32 v8, v3, s10
	v_mul_lo_u32 v3, v3, s11
	v_add3_u32 v2, v5, v7, v2
	v_add3_u32 v0, v11, v0, v8
	;; [unrolled: 1-line block ×3, first 2 shown]
	s_cbranch_scc1 .LBB7_12
; %bb.13:
	s_and_b32 s6, s27, 3
	s_cmp_eq_u32 s6, 0
	s_cbranch_scc0 .LBB7_25
	s_branch .LBB7_27
.LBB7_14:
	s_or_b64 exec, exec, s[48:49]
	v_cmp_gt_i32_e32 vcc, s55, v9
	s_and_saveexec_b64 s[48:49], vcc
	s_cbranch_execz .LBB7_103
.LBB7_15:
	s_andn2_b64 vcc, exec, s[36:37]
	s_cbranch_vccnz .LBB7_22
; %bb.16:
	s_andn2_b64 vcc, exec, s[46:47]
	s_cbranch_vccnz .LBB7_90
; %bb.17:
	s_add_i32 s58, s56, 1
	s_cmp_eq_u32 s54, 2
	s_cbranch_scc1 .LBB7_111
; %bb.18:
	s_and_b32 s57, s58, 28
	v_mov_b32_e32 v2, 0
	s_mov_b32 s59, 0
	s_mov_b64 s[50:51], s[34:35]
	s_mov_b64 s[52:53], s[44:45]
	v_mov_b32_e32 v0, 0
	v_mov_b32_e32 v1, v9
.LBB7_19:                               ; =>This Inner Loop Header: Depth=1
	s_load_dwordx8 s[8:15], s[50:51], 0x4
	s_load_dwordx4 s[28:31], s[50:51], 0x24
	s_load_dwordx8 s[0:7], s[52:53], 0x0
	s_add_u32 s50, s50, 48
	s_addc_u32 s51, s51, 0
	s_waitcnt lgkmcnt(0)
	v_mul_hi_u32 v3, s9, v1
	s_add_i32 s59, s59, 4
	s_add_u32 s52, s52, 32
	s_addc_u32 s53, s53, 0
	v_add_u32_e32 v3, v1, v3
	v_lshrrev_b32_e32 v3, s10, v3
	v_mul_lo_u32 v4, v3, s8
	v_mul_hi_u32 v5, s12, v3
	s_cmp_eq_u32 s57, s59
	v_sub_u32_e32 v1, v1, v4
	v_add_u32_e32 v4, v3, v5
	v_mul_lo_u32 v5, v1, s0
	v_mul_lo_u32 v6, v1, s1
	v_lshrrev_b32_e32 v1, s13, v4
	v_mul_lo_u32 v4, v1, s11
	v_mul_hi_u32 v7, s15, v1
	v_sub_u32_e32 v3, v3, v4
	v_add_u32_e32 v4, v1, v7
	v_lshrrev_b32_e32 v4, s28, v4
	v_mul_hi_u32 v8, s30, v4
	v_mul_lo_u32 v10, v4, s14
	v_mul_lo_u32 v7, v3, s2
	;; [unrolled: 1-line block ×3, first 2 shown]
	v_sub_u32_e32 v10, v1, v10
	v_add_u32_e32 v1, v4, v8
	v_lshrrev_b32_e32 v1, s31, v1
	v_mul_lo_u32 v8, v1, s29
	v_mul_lo_u32 v11, v10, s4
	;; [unrolled: 1-line block ×3, first 2 shown]
	v_add3_u32 v0, v5, v0, v7
	v_sub_u32_e32 v4, v4, v8
	v_mul_lo_u32 v8, v4, s6
	v_mul_lo_u32 v4, v4, s7
	v_add3_u32 v2, v6, v2, v3
	v_add3_u32 v0, v11, v0, v8
	;; [unrolled: 1-line block ×3, first 2 shown]
	s_cbranch_scc0 .LBB7_19
	s_branch .LBB7_112
.LBB7_20:
                                        ; implicit-def: $vgpr0
                                        ; implicit-def: $vgpr7
	s_branch .LBB7_28
.LBB7_21:
                                        ; implicit-def: $vgpr0
                                        ; implicit-def: $vgpr2
	s_branch .LBB7_96
.LBB7_22:
                                        ; implicit-def: $vgpr0
                                        ; implicit-def: $vgpr2
	s_branch .LBB7_116
.LBB7_23:
	v_mov_b32_e32 v0, 0
	v_mov_b32_e32 v7, 0
	s_branch .LBB7_27
.LBB7_24:
	v_mov_b32_e32 v0, 0
	v_mov_b32_e32 v7, 0
	;; [unrolled: 1-line block ×3, first 2 shown]
	s_and_b32 s6, s27, 3
	s_cmp_eq_u32 s6, 0
	s_cbranch_scc1 .LBB7_27
.LBB7_25:
	s_lshl_b32 s2, s26, 3
	s_add_u32 s2, s34, s2
	s_addc_u32 s3, s35, 0
	s_add_u32 s2, s2, 0xc4
	s_addc_u32 s3, s3, 0
	s_mul_i32 s4, s26, 12
	s_add_u32 s4, s34, s4
	s_addc_u32 s5, s35, 0
.LBB7_26:                               ; =>This Inner Loop Header: Depth=1
	s_load_dwordx2 s[8:9], s[4:5], 0x4
	s_load_dword s7, s[4:5], 0xc
	s_load_dwordx2 s[10:11], s[2:3], 0x0
	s_add_u32 s4, s4, 12
	s_addc_u32 s5, s5, 0
	s_waitcnt lgkmcnt(0)
	v_mul_hi_u32 v2, s9, v1
	s_add_u32 s2, s2, 8
	s_addc_u32 s3, s3, 0
	s_add_i32 s6, s6, -1
	v_add_u32_e32 v2, v1, v2
	v_lshrrev_b32_e32 v2, s7, v2
	v_mul_lo_u32 v3, v2, s8
	s_cmp_lg_u32 s6, 0
	v_sub_u32_e32 v3, v1, v3
	v_mad_u64_u32 v[0:1], s[8:9], v3, s10, v[0:1]
	v_mad_u64_u32 v[7:8], s[8:9], v3, s11, v[7:8]
	v_mov_b32_e32 v1, v2
	s_cbranch_scc1 .LBB7_26
.LBB7_27:
	s_cbranch_execnz .LBB7_30
.LBB7_28:
	s_load_dwordx4 s[4:7], s[34:35], 0x4
	s_load_dwordx2 s[2:3], s[34:35], 0xc4
	s_cmp_lt_u32 s33, 2
	s_waitcnt lgkmcnt(0)
	v_mul_hi_u32 v0, s5, v9
	v_add_u32_e32 v0, v9, v0
	v_lshrrev_b32_e32 v1, s6, v0
	v_mul_lo_u32 v0, v1, s4
	v_sub_u32_e32 v2, v9, v0
	v_mul_lo_u32 v0, v2, s2
	v_mul_lo_u32 v7, v2, s3
	s_cbranch_scc1 .LBB7_30
; %bb.29:
	s_load_dwordx4 s[4:7], s[34:35], 0x10
	s_load_dwordx2 s[2:3], s[34:35], 0xcc
	s_waitcnt lgkmcnt(0)
	v_mul_hi_u32 v2, s5, v1
	v_add_u32_e32 v2, v1, v2
	v_lshrrev_b32_e32 v2, s6, v2
	v_mul_lo_u32 v2, v2, s4
	v_sub_u32_e32 v2, v1, v2
	v_mad_u64_u32 v[0:1], s[4:5], v2, s2, v[0:1]
	v_mad_u64_u32 v[7:8], s[2:3], v2, s3, v[7:8]
.LBB7_30:
	s_and_b64 vcc, exec, s[0:1]
	v_add_u32_e32 v3, 0x80, v9
	s_cbranch_vccnz .LBB7_36
; %bb.31:
	s_cmp_lg_u32 s33, 0
	s_waitcnt lgkmcnt(0)
	s_mov_b32 s26, 0
	s_cbranch_scc0 .LBB7_37
; %bb.32:
	s_min_u32 s27, s54, 15
	s_add_i32 s27, s27, 1
	s_cmp_eq_u32 s54, 2
	s_cbranch_scc1 .LBB7_38
; %bb.33:
	s_and_b32 s26, s27, 28
	s_add_u32 s2, s34, 0xc4
	s_addc_u32 s3, s35, 0
	v_mov_b32_e32 v10, 0
	s_mov_b32 s28, 0
	s_mov_b64 s[24:25], s[34:35]
	v_mov_b32_e32 v1, 0
	v_mov_b32_e32 v2, v3
.LBB7_34:                               ; =>This Inner Loop Header: Depth=1
	s_load_dwordx8 s[12:19], s[24:25], 0x4
	s_load_dwordx4 s[20:23], s[24:25], 0x24
	s_load_dwordx8 s[4:11], s[2:3], 0x0
	s_add_u32 s24, s24, 48
	s_addc_u32 s25, s25, 0
	s_waitcnt lgkmcnt(0)
	v_mul_hi_u32 v4, s13, v2
	s_add_i32 s28, s28, 4
	s_add_u32 s2, s2, 32
	s_addc_u32 s3, s3, 0
	v_add_u32_e32 v4, v2, v4
	v_lshrrev_b32_e32 v4, s14, v4
	v_mul_lo_u32 v5, v4, s12
	v_mul_hi_u32 v6, s16, v4
	s_cmp_lg_u32 s26, s28
	v_sub_u32_e32 v2, v2, v5
	v_add_u32_e32 v5, v4, v6
	v_mul_lo_u32 v6, v2, s4
	v_mul_lo_u32 v8, v2, s5
	v_lshrrev_b32_e32 v2, s17, v5
	v_mul_lo_u32 v5, v2, s15
	v_mul_hi_u32 v11, s19, v2
	v_sub_u32_e32 v4, v4, v5
	v_add_u32_e32 v5, v2, v11
	v_lshrrev_b32_e32 v5, s20, v5
	v_mul_hi_u32 v13, s22, v5
	v_mul_lo_u32 v14, v5, s18
	v_mul_lo_u32 v11, v4, s6
	v_mul_lo_u32 v4, v4, s7
	v_sub_u32_e32 v14, v2, v14
	v_add_u32_e32 v2, v5, v13
	v_lshrrev_b32_e32 v2, s23, v2
	v_mul_lo_u32 v13, v2, s21
	v_mul_lo_u32 v15, v14, s8
	;; [unrolled: 1-line block ×3, first 2 shown]
	v_add3_u32 v1, v6, v1, v11
	v_sub_u32_e32 v5, v5, v13
	v_mul_lo_u32 v13, v5, s10
	v_mul_lo_u32 v5, v5, s11
	v_add3_u32 v4, v8, v10, v4
	v_add3_u32 v1, v15, v1, v13
	;; [unrolled: 1-line block ×3, first 2 shown]
	s_cbranch_scc1 .LBB7_34
; %bb.35:
	s_and_b32 s6, s27, 3
	s_cmp_eq_u32 s6, 0
	s_cbranch_scc0 .LBB7_39
	s_branch .LBB7_41
.LBB7_36:
                                        ; implicit-def: $vgpr1
                                        ; implicit-def: $vgpr10
	s_branch .LBB7_42
.LBB7_37:
	v_mov_b32_e32 v1, 0
	v_mov_b32_e32 v10, 0
	s_branch .LBB7_41
.LBB7_38:
	v_mov_b32_e32 v1, 0
	v_mov_b32_e32 v10, 0
	;; [unrolled: 1-line block ×3, first 2 shown]
	s_and_b32 s6, s27, 3
	s_cmp_eq_u32 s6, 0
	s_cbranch_scc1 .LBB7_41
.LBB7_39:
	s_lshl_b32 s2, s26, 3
	s_add_u32 s2, s34, s2
	s_addc_u32 s3, s35, 0
	s_add_u32 s2, s2, 0xc4
	s_addc_u32 s3, s3, 0
	s_mul_i32 s4, s26, 12
	s_add_u32 s4, s34, s4
	s_addc_u32 s5, s35, 0
.LBB7_40:                               ; =>This Inner Loop Header: Depth=1
	s_load_dwordx2 s[8:9], s[4:5], 0x4
	s_load_dword s7, s[4:5], 0xc
	s_load_dwordx2 s[10:11], s[2:3], 0x0
	s_add_u32 s4, s4, 12
	s_addc_u32 s5, s5, 0
	s_waitcnt lgkmcnt(0)
	v_mul_hi_u32 v4, s9, v2
	s_add_u32 s2, s2, 8
	s_addc_u32 s3, s3, 0
	s_add_i32 s6, s6, -1
	v_add_u32_e32 v4, v2, v4
	v_lshrrev_b32_e32 v4, s7, v4
	v_mul_lo_u32 v5, v4, s8
	s_cmp_lg_u32 s6, 0
	v_sub_u32_e32 v5, v2, v5
	v_mad_u64_u32 v[1:2], s[8:9], v5, s10, v[1:2]
	v_mad_u64_u32 v[10:11], s[8:9], v5, s11, v[10:11]
	v_mov_b32_e32 v2, v4
	s_cbranch_scc1 .LBB7_40
.LBB7_41:
	s_cbranch_execnz .LBB7_44
.LBB7_42:
	s_load_dwordx4 s[4:7], s[34:35], 0x4
	s_load_dwordx2 s[2:3], s[34:35], 0xc4
	s_cmp_lt_u32 s33, 2
	s_waitcnt lgkmcnt(0)
	v_mul_hi_u32 v1, s5, v3
	v_add_u32_e32 v1, v3, v1
	v_lshrrev_b32_e32 v2, s6, v1
	v_mul_lo_u32 v1, v2, s4
	v_sub_u32_e32 v3, v3, v1
	v_mul_lo_u32 v1, v3, s2
	v_mul_lo_u32 v10, v3, s3
	s_cbranch_scc1 .LBB7_44
; %bb.43:
	s_load_dwordx4 s[4:7], s[34:35], 0x10
	s_load_dwordx2 s[2:3], s[34:35], 0xcc
	s_waitcnt lgkmcnt(0)
	v_mul_hi_u32 v3, s5, v2
	v_add_u32_e32 v3, v2, v3
	v_lshrrev_b32_e32 v3, s6, v3
	v_mul_lo_u32 v3, v3, s4
	v_sub_u32_e32 v3, v2, v3
	v_mad_u64_u32 v[1:2], s[4:5], v3, s2, v[1:2]
	v_mad_u64_u32 v[10:11], s[2:3], v3, s3, v[10:11]
.LBB7_44:
	s_and_b64 vcc, exec, s[0:1]
	v_add_u32_e32 v4, 0x100, v9
	s_cbranch_vccnz .LBB7_50
; %bb.45:
	s_cmp_lg_u32 s33, 0
	s_waitcnt lgkmcnt(0)
	s_mov_b32 s26, 0
	s_cbranch_scc0 .LBB7_51
; %bb.46:
	s_min_u32 s27, s54, 15
	s_add_i32 s27, s27, 1
	s_cmp_eq_u32 s54, 2
	s_cbranch_scc1 .LBB7_52
; %bb.47:
	s_and_b32 s26, s27, 28
	s_add_u32 s2, s34, 0xc4
	s_addc_u32 s3, s35, 0
	v_mov_b32_e32 v8, 0
	s_mov_b32 s28, 0
	s_mov_b64 s[24:25], s[34:35]
	v_mov_b32_e32 v2, 0
	v_mov_b32_e32 v3, v4
.LBB7_48:                               ; =>This Inner Loop Header: Depth=1
	s_load_dwordx8 s[12:19], s[24:25], 0x4
	s_load_dwordx4 s[20:23], s[24:25], 0x24
	s_load_dwordx8 s[4:11], s[2:3], 0x0
	s_add_u32 s24, s24, 48
	s_addc_u32 s25, s25, 0
	s_waitcnt lgkmcnt(0)
	v_mul_hi_u32 v5, s13, v3
	s_add_i32 s28, s28, 4
	s_add_u32 s2, s2, 32
	s_addc_u32 s3, s3, 0
	v_add_u32_e32 v5, v3, v5
	v_lshrrev_b32_e32 v5, s14, v5
	v_mul_lo_u32 v6, v5, s12
	v_mul_hi_u32 v9, s16, v5
	s_cmp_lg_u32 s26, s28
	v_sub_u32_e32 v3, v3, v6
	v_add_u32_e32 v6, v5, v9
	v_mul_lo_u32 v9, v3, s4
	v_mul_lo_u32 v11, v3, s5
	v_lshrrev_b32_e32 v3, s17, v6
	v_mul_lo_u32 v6, v3, s15
	v_mul_hi_u32 v13, s19, v3
	v_sub_u32_e32 v5, v5, v6
	v_add_u32_e32 v6, v3, v13
	v_lshrrev_b32_e32 v6, s20, v6
	v_mul_hi_u32 v14, s22, v6
	v_mul_lo_u32 v15, v6, s18
	v_mul_lo_u32 v13, v5, s6
	;; [unrolled: 1-line block ×3, first 2 shown]
	v_sub_u32_e32 v15, v3, v15
	v_add_u32_e32 v3, v6, v14
	v_lshrrev_b32_e32 v3, s23, v3
	v_mul_lo_u32 v14, v3, s21
	v_mul_lo_u32 v16, v15, s8
	;; [unrolled: 1-line block ×3, first 2 shown]
	v_add3_u32 v2, v9, v2, v13
	v_sub_u32_e32 v6, v6, v14
	v_mul_lo_u32 v14, v6, s10
	v_mul_lo_u32 v6, v6, s11
	v_add3_u32 v5, v11, v8, v5
	v_add3_u32 v2, v16, v2, v14
	;; [unrolled: 1-line block ×3, first 2 shown]
	s_cbranch_scc1 .LBB7_48
; %bb.49:
	s_and_b32 s6, s27, 3
	s_cmp_eq_u32 s6, 0
	s_cbranch_scc0 .LBB7_53
	s_branch .LBB7_55
.LBB7_50:
                                        ; implicit-def: $vgpr2
                                        ; implicit-def: $vgpr8
	s_branch .LBB7_56
.LBB7_51:
	v_mov_b32_e32 v2, 0
	v_mov_b32_e32 v8, 0
	s_branch .LBB7_55
.LBB7_52:
	v_mov_b32_e32 v2, 0
	v_mov_b32_e32 v8, 0
	;; [unrolled: 1-line block ×3, first 2 shown]
	s_and_b32 s6, s27, 3
	s_cmp_eq_u32 s6, 0
	s_cbranch_scc1 .LBB7_55
.LBB7_53:
	s_lshl_b32 s2, s26, 3
	s_add_u32 s2, s34, s2
	s_addc_u32 s3, s35, 0
	s_add_u32 s2, s2, 0xc4
	s_addc_u32 s3, s3, 0
	s_mul_i32 s4, s26, 12
	s_add_u32 s4, s34, s4
	s_addc_u32 s5, s35, 0
.LBB7_54:                               ; =>This Inner Loop Header: Depth=1
	s_load_dwordx2 s[8:9], s[4:5], 0x4
	s_load_dword s7, s[4:5], 0xc
	s_load_dwordx2 s[10:11], s[2:3], 0x0
	s_add_u32 s4, s4, 12
	s_addc_u32 s5, s5, 0
	s_waitcnt lgkmcnt(0)
	v_mul_hi_u32 v5, s9, v3
	s_add_u32 s2, s2, 8
	s_addc_u32 s3, s3, 0
	s_add_i32 s6, s6, -1
	v_add_u32_e32 v5, v3, v5
	v_lshrrev_b32_e32 v5, s7, v5
	v_mul_lo_u32 v6, v5, s8
	s_cmp_lg_u32 s6, 0
	v_sub_u32_e32 v6, v3, v6
	v_mad_u64_u32 v[2:3], s[8:9], v6, s10, v[2:3]
	v_mad_u64_u32 v[8:9], s[8:9], v6, s11, v[8:9]
	v_mov_b32_e32 v3, v5
	s_cbranch_scc1 .LBB7_54
.LBB7_55:
	s_cbranch_execnz .LBB7_58
.LBB7_56:
	s_load_dwordx4 s[4:7], s[34:35], 0x4
	s_load_dwordx2 s[2:3], s[34:35], 0xc4
	s_cmp_lt_u32 s33, 2
	s_waitcnt lgkmcnt(0)
	v_mul_hi_u32 v2, s5, v4
	v_add_u32_e32 v2, v4, v2
	v_lshrrev_b32_e32 v3, s6, v2
	v_mul_lo_u32 v2, v3, s4
	v_sub_u32_e32 v4, v4, v2
	v_mul_lo_u32 v2, v4, s2
	v_mul_lo_u32 v8, v4, s3
	s_cbranch_scc1 .LBB7_58
; %bb.57:
	s_load_dwordx4 s[4:7], s[34:35], 0x10
	s_load_dwordx2 s[2:3], s[34:35], 0xcc
	s_waitcnt lgkmcnt(0)
	v_mul_hi_u32 v4, s5, v3
	v_add_u32_e32 v4, v3, v4
	v_lshrrev_b32_e32 v4, s6, v4
	v_mul_lo_u32 v4, v4, s4
	v_sub_u32_e32 v4, v3, v4
	v_mad_u64_u32 v[2:3], s[4:5], v4, s2, v[2:3]
	v_mad_u64_u32 v[8:9], s[2:3], v4, s3, v[8:9]
.LBB7_58:
	s_and_b64 vcc, exec, s[0:1]
	s_cbranch_vccnz .LBB7_64
; %bb.59:
	s_cmp_lg_u32 s33, 0
	s_waitcnt lgkmcnt(0)
	s_mov_b32 s24, 0
	s_cbranch_scc0 .LBB7_65
; %bb.60:
	s_min_u32 s25, s54, 15
	s_add_i32 s25, s25, 1
	s_cmp_eq_u32 s54, 2
	s_cbranch_scc1 .LBB7_66
; %bb.61:
	s_and_b32 s24, s25, 28
	s_add_u32 s20, s34, 0xc4
	s_addc_u32 s21, s35, 0
	v_mov_b32_e32 v5, 0
	s_mov_b32 s26, 0
	s_mov_b64 s[22:23], s[34:35]
	v_mov_b32_e32 v3, 0
	v_mov_b32_e32 v4, v12
.LBB7_62:                               ; =>This Inner Loop Header: Depth=1
	s_load_dwordx8 s[8:15], s[22:23], 0x4
	s_load_dwordx4 s[16:19], s[22:23], 0x24
	s_load_dwordx8 s[0:7], s[20:21], 0x0
	s_add_u32 s22, s22, 48
	s_addc_u32 s23, s23, 0
	s_waitcnt lgkmcnt(0)
	v_mul_hi_u32 v6, s9, v4
	s_add_i32 s26, s26, 4
	s_add_u32 s20, s20, 32
	s_addc_u32 s21, s21, 0
	v_add_u32_e32 v6, v4, v6
	v_lshrrev_b32_e32 v6, s10, v6
	v_mul_lo_u32 v9, v6, s8
	v_mul_hi_u32 v11, s12, v6
	s_cmp_lg_u32 s24, s26
	v_sub_u32_e32 v4, v4, v9
	v_add_u32_e32 v9, v6, v11
	v_mul_lo_u32 v11, v4, s0
	v_mul_lo_u32 v13, v4, s1
	v_lshrrev_b32_e32 v4, s13, v9
	v_mul_lo_u32 v9, v4, s11
	v_mul_hi_u32 v14, s15, v4
	v_sub_u32_e32 v6, v6, v9
	v_add_u32_e32 v9, v4, v14
	v_lshrrev_b32_e32 v9, s16, v9
	v_mul_hi_u32 v15, s18, v9
	v_mul_lo_u32 v16, v9, s14
	v_mul_lo_u32 v14, v6, s2
	;; [unrolled: 1-line block ×3, first 2 shown]
	v_sub_u32_e32 v16, v4, v16
	v_add_u32_e32 v4, v9, v15
	v_lshrrev_b32_e32 v4, s19, v4
	v_mul_lo_u32 v15, v4, s17
	v_mul_lo_u32 v17, v16, s4
	;; [unrolled: 1-line block ×3, first 2 shown]
	v_add3_u32 v3, v11, v3, v14
	v_sub_u32_e32 v9, v9, v15
	v_mul_lo_u32 v15, v9, s6
	v_mul_lo_u32 v9, v9, s7
	v_add3_u32 v5, v13, v5, v6
	v_add3_u32 v3, v17, v3, v15
	;; [unrolled: 1-line block ×3, first 2 shown]
	s_cbranch_scc1 .LBB7_62
; %bb.63:
	s_and_b32 s4, s25, 3
	s_cmp_eq_u32 s4, 0
	s_cbranch_scc0 .LBB7_67
	s_branch .LBB7_69
.LBB7_64:
                                        ; implicit-def: $vgpr3
                                        ; implicit-def: $vgpr5
	s_branch .LBB7_70
.LBB7_65:
	v_mov_b32_e32 v3, 0
	v_mov_b32_e32 v5, 0
	s_branch .LBB7_69
.LBB7_66:
	v_mov_b32_e32 v3, 0
	v_mov_b32_e32 v5, 0
	;; [unrolled: 1-line block ×3, first 2 shown]
	s_and_b32 s4, s25, 3
	s_cmp_eq_u32 s4, 0
	s_cbranch_scc1 .LBB7_69
.LBB7_67:
	s_lshl_b32 s0, s24, 3
	s_add_u32 s0, s34, s0
	s_addc_u32 s1, s35, 0
	s_add_u32 s0, s0, 0xc4
	s_addc_u32 s1, s1, 0
	s_mul_i32 s2, s24, 12
	s_add_u32 s2, s34, s2
	s_addc_u32 s3, s35, 0
.LBB7_68:                               ; =>This Inner Loop Header: Depth=1
	s_load_dwordx2 s[6:7], s[2:3], 0x4
	s_load_dword s5, s[2:3], 0xc
	s_load_dwordx2 s[8:9], s[0:1], 0x0
	s_add_u32 s2, s2, 12
	s_addc_u32 s3, s3, 0
	s_waitcnt lgkmcnt(0)
	v_mul_hi_u32 v6, s7, v4
	s_add_u32 s0, s0, 8
	s_addc_u32 s1, s1, 0
	s_add_i32 s4, s4, -1
	v_add_u32_e32 v6, v4, v6
	v_lshrrev_b32_e32 v9, s5, v6
	v_mul_lo_u32 v6, v9, s6
	s_cmp_lg_u32 s4, 0
	v_sub_u32_e32 v6, v4, v6
	v_mad_u64_u32 v[3:4], s[6:7], v6, s8, v[3:4]
	v_mad_u64_u32 v[5:6], s[6:7], v6, s9, v[5:6]
	v_mov_b32_e32 v4, v9
	s_cbranch_scc1 .LBB7_68
.LBB7_69:
	s_cbranch_execnz .LBB7_72
.LBB7_70:
	s_load_dwordx4 s[0:3], s[34:35], 0x4
	s_load_dwordx2 s[4:5], s[34:35], 0xc4
	s_cmp_lt_u32 s33, 2
	s_waitcnt lgkmcnt(0)
	v_mul_hi_u32 v3, s1, v12
	v_add_u32_e32 v3, v12, v3
	v_lshrrev_b32_e32 v4, s2, v3
	v_mul_lo_u32 v3, v4, s0
	v_sub_u32_e32 v5, v12, v3
	v_mul_lo_u32 v3, v5, s4
	v_mul_lo_u32 v5, v5, s5
	s_cbranch_scc1 .LBB7_72
; %bb.71:
	s_load_dwordx4 s[0:3], s[34:35], 0x10
	s_load_dwordx2 s[4:5], s[34:35], 0xcc
	s_waitcnt lgkmcnt(0)
	v_mul_hi_u32 v6, s1, v4
	v_add_u32_e32 v6, v4, v6
	v_lshrrev_b32_e32 v6, s2, v6
	v_mul_lo_u32 v6, v6, s0
	v_sub_u32_e32 v6, v4, v6
	v_mad_u64_u32 v[3:4], s[0:1], v6, s4, v[3:4]
	v_mad_u64_u32 v[5:6], s[0:1], v6, s5, v[5:6]
.LBB7_72:
	s_load_dwordx4 s[4:7], s[34:35], 0x148
	s_mov_b32 s0, 0
	s_mov_b32 s1, 0x40200000
	s_waitcnt lgkmcnt(0)
	global_load_dwordx2 v[11:12], v7, s[6:7]
                                        ; implicit-def: $vgpr6_vgpr7
	s_waitcnt vmcnt(0)
	v_cmp_le_f64_e64 s[0:1], |v[11:12]|, s[0:1]
	s_and_saveexec_b64 s[2:3], s[0:1]
	s_xor_b64 s[0:1], exec, s[2:3]
	s_cbranch_execz .LBB7_74
; %bb.73:
	v_fma_f64 v[6:7], |v[11:12]|, 0.5, -2.0
	v_mov_b32_e32 v13, 0x977da589
	v_mov_b32_e32 v14, 0x3c833362
	s_mov_b32 s3, 0xbc545cb7
	s_mov_b32 s2, 0x2134d0ef
	s_mov_b32 s8, 0x3b39803f
	s_mov_b32 s9, 0xbc7abc9e
	v_mov_b32_e32 v19, 0xfca7ab0c
	v_fma_f64 v[13:14], v[6:7], s[2:3], v[13:14]
	s_mov_b32 s3, 0x3c545cb7
	v_mov_b32_e32 v20, 0x3e928af3
	v_fma_f64 v[15:16], v[6:7], v[13:14], s[2:3]
	s_mov_b32 s2, 0x721ebbb4
	s_mov_b32 s3, 0xbcb184eb
	v_add_f64 v[15:16], v[15:16], s[2:3]
	s_mov_b32 s2, 0x93f65eba
	s_mov_b32 s3, 0x3cdee6d8
	v_fma_f64 v[13:14], v[6:7], v[15:16], -v[13:14]
	v_add_f64 v[13:14], v[13:14], s[2:3]
	s_mov_b32 s2, 0xc297fbeb
	s_mov_b32 s3, 0xbd0a5022
	v_fma_f64 v[15:16], v[6:7], v[13:14], -v[15:16]
	;; [unrolled: 4-line block ×20, first 2 shown]
	v_add_f64 v[15:16], v[15:16], s[2:3]
	s_mov_b32 s2, 0x652b82fe
	s_mov_b32 s3, 0x3ff71547
	v_mul_f64 v[17:18], |v[11:12]|, s[2:3]
	s_mov_b32 s2, 0xf3dde3dd
	s_mov_b32 s3, 0x3f859961
	v_fma_f64 v[13:14], v[6:7], v[15:16], -v[13:14]
	v_rndne_f64_e32 v[17:18], v[17:18]
	v_add_f64 v[13:14], v[13:14], s[2:3]
	s_mov_b32 s2, 0xfefa39ef
	s_mov_b32 s3, 0xbfe62e42
	v_fma_f64 v[11:12], v[17:18], s[2:3], |v[11:12]|
	s_mov_b32 s2, 0xf121b6f0
	s_mov_b32 s3, 0xbf984e9e
	v_cvt_i32_f64_e32 v4, v[17:18]
	v_fma_f64 v[15:16], v[6:7], v[13:14], -v[15:16]
	v_fma_f64 v[11:12], v[17:18], s[8:9], v[11:12]
	s_mov_b32 s8, 0x623fde64
	s_mov_b32 s9, 0x3ec71dee
	v_add_f64 v[15:16], v[15:16], s[2:3]
	s_mov_b32 s2, 0x6a5dcb37
	s_mov_b32 s3, 0x3e5ade15
	v_fma_f64 v[19:20], v[11:12], s[2:3], v[19:20]
	s_mov_b32 s2, 0xcea8a32d
	s_mov_b32 s3, 0x3fa93e8a
	v_fma_f64 v[13:14], v[6:7], v[15:16], -v[13:14]
	v_fma_f64 v[19:20], v[11:12], v[19:20], s[8:9]
	s_mov_b32 s8, 0x14761f6e
	s_mov_b32 s9, 0x3f2a01a0
	v_add_f64 v[13:14], v[13:14], s[2:3]
	s_mov_b32 s2, 0x7c89e6b0
	s_mov_b32 s3, 0x3efa0199
	v_fma_f64 v[19:20], v[11:12], v[19:20], s[2:3]
	s_mov_b32 s2, 0x342d06ea
	s_mov_b32 s3, 0xbfb84b70
	;; [unrolled: 10-line block ×4, first 2 shown]
	v_fma_f64 v[15:16], v[6:7], v[13:14], -v[15:16]
	v_fma_f64 v[19:20], v[11:12], v[19:20], s[8:9]
	v_add_f64 v[15:16], v[15:16], s[2:3]
	s_mov_b32 s2, 11
	s_mov_b32 s3, 0x3fe00000
	v_fma_f64 v[19:20], v[11:12], v[19:20], s[2:3]
	s_mov_b32 s2, 0x9035a22a
	s_mov_b32 s3, 0x3fe5a84e
	v_fma_f64 v[6:7], v[6:7], v[15:16], -v[13:14]
	v_fma_f64 v[15:16], v[11:12], v[19:20], 1.0
	v_add_f64 v[6:7], v[6:7], s[2:3]
	v_fma_f64 v[11:12], v[11:12], v[15:16], 1.0
	v_add_f64 v[6:7], v[6:7], -v[13:14]
	v_ldexp_f64 v[11:12], v[11:12], v4
	v_mul_f64 v[6:7], v[6:7], 0.5
	v_mul_f64 v[6:7], v[11:12], v[6:7]
                                        ; implicit-def: $vgpr11_vgpr12
.LBB7_74:
	s_andn2_saveexec_b64 s[2:3], s[0:1]
	s_cbranch_execz .LBB7_76
; %bb.75:
	s_mov_b32 s0, 0
	v_and_b32_e32 v7, 0x7fffffff, v12
	v_mov_b32_e32 v6, v11
	s_mov_b32 s1, 0x40400000
	v_div_scale_f64 v[13:14], s[8:9], v[6:7], v[6:7], s[0:1]
	v_div_scale_f64 v[6:7], vcc, s[0:1], v[6:7], s[0:1]
	s_mov_b32 s8, 0x3b39803f
	s_mov_b32 s9, 0xbc7abc9e
	v_mov_b32_e32 v21, 0xfca7ab0c
	v_mov_b32_e32 v22, 0x3e928af3
	s_mov_b32 s10, 0x623fde64
	s_mov_b32 s11, 0x3ec71dee
	v_mov_b32_e32 v4, 0x100
	v_mov_b32_e32 v9, 0x7ff00000
	v_rcp_f64_e32 v[15:16], v[13:14]
	v_fma_f64 v[17:18], -v[13:14], v[15:16], 1.0
	v_fma_f64 v[15:16], v[15:16], v[17:18], v[15:16]
	v_fma_f64 v[17:18], -v[13:14], v[15:16], 1.0
	v_fma_f64 v[15:16], v[15:16], v[17:18], v[15:16]
	v_mul_f64 v[17:18], v[6:7], v[15:16]
	v_fma_f64 v[6:7], -v[13:14], v[17:18], v[6:7]
	v_mov_b32_e32 v13, 0x66119130
	v_mov_b32_e32 v14, 0xbc5646da
	v_div_fmas_f64 v[6:7], v[6:7], v[15:16], v[17:18]
	v_div_fixup_f64 v[6:7], v[6:7], |v[11:12]|, s[0:1]
	s_mov_b32 s1, 0xbc60adb7
	s_mov_b32 s0, 0x54ca8b19
	v_add_f64 v[6:7], v[6:7], -2.0
	v_fma_f64 v[13:14], v[6:7], s[0:1], v[13:14]
	s_mov_b32 s1, 0x3c60adb7
	v_fma_f64 v[15:16], v[6:7], v[13:14], s[0:1]
	s_mov_b32 s0, 0x12d98421
	s_mov_b32 s1, 0x3c89be18
	v_add_f64 v[15:16], v[15:16], s[0:1]
	s_mov_b32 s0, 0x76041cd
	s_mov_b32 s1, 0x3c83f3dd
	v_fma_f64 v[13:14], v[6:7], v[15:16], -v[13:14]
	v_add_f64 v[13:14], v[13:14], s[0:1]
	s_mov_b32 s0, 0xabd21fe4
	s_mov_b32 s1, 0xbcb4600b
	v_fma_f64 v[15:16], v[6:7], v[13:14], -v[15:16]
	;; [unrolled: 4-line block ×15, first 2 shown]
	v_add_f64 v[15:16], v[15:16], s[0:1]
	s_mov_b32 s0, 0x652b82fe
	s_mov_b32 s1, 0x3ff71547
	v_mul_f64 v[17:18], |v[11:12]|, s[0:1]
	s_mov_b32 s0, 0xa9225b87
	s_mov_b32 s1, 0x3e2d2c64
	v_fma_f64 v[13:14], v[6:7], v[15:16], -v[13:14]
	v_rndne_f64_e32 v[17:18], v[17:18]
	v_add_f64 v[13:14], v[13:14], s[0:1]
	s_mov_b32 s0, 0xfefa39ef
	s_mov_b32 s1, 0xbfe62e42
	v_fma_f64 v[19:20], v[17:18], s[0:1], |v[11:12]|
	s_mov_b32 s0, 0x80d6d56d
	s_mov_b32 s1, 0x3e585692
	v_fma_f64 v[15:16], v[6:7], v[13:14], -v[15:16]
	v_fma_f64 v[19:20], v[17:18], s[8:9], v[19:20]
	s_mov_b32 s8, 0xd9cd616e
	s_mov_b32 s9, 0x3e8b8007
	v_add_f64 v[15:16], v[15:16], s[0:1]
	s_mov_b32 s0, 0x6a5dcb37
	s_mov_b32 s1, 0x3e5ade15
	v_fma_f64 v[21:22], v[19:20], s[0:1], v[21:22]
	s_mov_b32 s0, 0
	s_brev_b32 s1, 8
	v_cmp_lt_f64_e64 vcc, |v[11:12]|, s[0:1]
	s_mov_b32 s0, 0x7c89e6b0
	v_fma_f64 v[13:14], v[6:7], v[15:16], -v[13:14]
	s_mov_b32 s1, 0x3efa0199
	v_fma_f64 v[21:22], v[19:20], v[21:22], s[10:11]
	v_cndmask_b32_e32 v4, 0, v4, vcc
	v_ldexp_f64 v[23:24], |v[11:12]|, v4
	v_add_f64 v[13:14], v[13:14], s[8:9]
	s_mov_b32 s8, 0x14761f6e
	s_mov_b32 s9, 0x3f2a01a0
	v_fma_f64 v[21:22], v[19:20], v[21:22], s[0:1]
	s_mov_b32 s0, 0xc101c586
	s_mov_b32 s1, 0x3ec8412b
	v_cvt_i32_f64_e32 v4, v[17:18]
	v_rsq_f64_e32 v[25:26], v[23:24]
	v_fma_f64 v[15:16], v[6:7], v[13:14], -v[15:16]
	v_mov_b32_e32 v17, 0x260
	v_fma_f64 v[21:22], v[19:20], v[21:22], s[8:9]
	s_mov_b32 s8, 0x11122322
	s_mov_b32 s9, 0x3f811111
	v_add_f64 v[15:16], v[15:16], s[0:1]
	s_mov_b32 s0, 0x1852b7b0
	s_mov_b32 s1, 0x3f56c16c
	v_fma_f64 v[21:22], v[19:20], v[21:22], s[0:1]
	s_mov_b32 s0, 0x78999e52
	s_mov_b32 s1, 0x3f120fa3
	v_mul_f64 v[27:28], v[23:24], v[25:26]
	v_fma_f64 v[13:14], v[6:7], v[15:16], -v[13:14]
	v_mul_f64 v[25:26], v[25:26], 0.5
	v_fma_f64 v[21:22], v[19:20], v[21:22], s[8:9]
	s_mov_b32 s8, 0x55555511
	s_mov_b32 s9, 0x3fc55555
	v_add_f64 v[13:14], v[13:14], s[0:1]
	s_mov_b32 s0, 0x555502a1
	s_mov_b32 s1, 0x3fa55555
	v_fma_f64 v[29:30], -v[25:26], v[27:28], 0.5
	v_fma_f64 v[21:22], v[19:20], v[21:22], s[0:1]
	s_mov_b32 s0, 0xa2e59049
	s_mov_b32 s1, 0x3f6b998c
	v_fma_f64 v[15:16], v[6:7], v[13:14], -v[15:16]
	v_fma_f64 v[27:28], v[27:28], v[29:30], v[27:28]
	v_fma_f64 v[21:22], v[19:20], v[21:22], s[8:9]
	v_fma_f64 v[25:26], v[25:26], v[29:30], v[25:26]
	v_add_f64 v[15:16], v[15:16], s[0:1]
	s_mov_b32 s0, 11
	s_mov_b32 s1, 0x3fe00000
	v_fma_f64 v[29:30], -v[27:28], v[27:28], v[23:24]
	v_fma_f64 v[21:22], v[19:20], v[21:22], s[0:1]
	s_mov_b32 s0, 0xaca809cb
	s_mov_b32 s1, 0x3fe9be62
	v_fma_f64 v[6:7], v[6:7], v[15:16], -v[13:14]
	v_fma_f64 v[15:16], v[29:30], v[25:26], v[27:28]
	v_fma_f64 v[21:22], v[19:20], v[21:22], 1.0
	v_add_f64 v[6:7], v[6:7], s[0:1]
	s_mov_b32 s0, 0
	s_mov_b32 s1, 0x40900000
	v_fma_f64 v[27:28], -v[15:16], v[15:16], v[23:24]
	v_fma_f64 v[19:20], v[19:20], v[21:22], 1.0
	v_cmp_ngt_f64_e64 s[0:1], |v[11:12]|, s[0:1]
	v_add_f64 v[6:7], v[6:7], -v[13:14]
	v_fma_f64 v[13:14], v[27:28], v[25:26], v[15:16]
	v_ldexp_f64 v[15:16], v[19:20], v4
	v_mov_b32_e32 v4, 0xffffff80
	v_cndmask_b32_e32 v4, 0, v4, vcc
	v_cmp_class_f64_e32 vcc, v[23:24], v17
	v_mul_f64 v[6:7], v[6:7], 0.5
	v_ldexp_f64 v[11:12], v[13:14], v4
	v_cndmask_b32_e64 v14, v9, v16, s[0:1]
	v_cndmask_b32_e64 v13, 0, v15, s[0:1]
	v_mul_f64 v[6:7], v[13:14], v[6:7]
	v_cndmask_b32_e32 v12, v12, v24, vcc
	v_cndmask_b32_e32 v11, v11, v23, vcc
	v_div_scale_f64 v[13:14], s[0:1], v[11:12], v[11:12], v[6:7]
	v_div_scale_f64 v[19:20], vcc, v[6:7], v[11:12], v[6:7]
	v_rcp_f64_e32 v[15:16], v[13:14]
	v_fma_f64 v[17:18], -v[13:14], v[15:16], 1.0
	v_fma_f64 v[15:16], v[15:16], v[17:18], v[15:16]
	v_fma_f64 v[17:18], -v[13:14], v[15:16], 1.0
	v_fma_f64 v[15:16], v[15:16], v[17:18], v[15:16]
	v_mul_f64 v[17:18], v[19:20], v[15:16]
	v_fma_f64 v[13:14], -v[13:14], v[17:18], v[19:20]
	v_div_fmas_f64 v[13:14], v[13:14], v[15:16], v[17:18]
	v_div_fixup_f64 v[6:7], v[13:14], v[11:12], v[6:7]
.LBB7_76:
	s_or_b64 exec, exec, s[2:3]
	global_load_dwordx2 v[11:12], v10, s[6:7]
	s_mov_b32 s0, 0
	s_mov_b32 s1, 0x40200000
                                        ; implicit-def: $vgpr9_vgpr10
	s_waitcnt vmcnt(0)
	v_cmp_le_f64_e64 s[0:1], |v[11:12]|, s[0:1]
	s_and_saveexec_b64 s[2:3], s[0:1]
	s_xor_b64 s[0:1], exec, s[2:3]
	s_cbranch_execz .LBB7_78
; %bb.77:
	v_fma_f64 v[9:10], |v[11:12]|, 0.5, -2.0
	v_mov_b32_e32 v13, 0x977da589
	v_mov_b32_e32 v14, 0x3c833362
	s_mov_b32 s3, 0xbc545cb7
	s_mov_b32 s2, 0x2134d0ef
	;; [unrolled: 1-line block ×4, first 2 shown]
	v_mov_b32_e32 v19, 0xfca7ab0c
	v_fma_f64 v[13:14], v[9:10], s[2:3], v[13:14]
	s_mov_b32 s3, 0x3c545cb7
	v_mov_b32_e32 v20, 0x3e928af3
	v_fma_f64 v[15:16], v[9:10], v[13:14], s[2:3]
	s_mov_b32 s2, 0x721ebbb4
	s_mov_b32 s3, 0xbcb184eb
	v_add_f64 v[15:16], v[15:16], s[2:3]
	s_mov_b32 s2, 0x93f65eba
	s_mov_b32 s3, 0x3cdee6d8
	v_fma_f64 v[13:14], v[9:10], v[15:16], -v[13:14]
	v_add_f64 v[13:14], v[13:14], s[2:3]
	s_mov_b32 s2, 0xc297fbeb
	s_mov_b32 s3, 0xbd0a5022
	v_fma_f64 v[15:16], v[9:10], v[13:14], -v[15:16]
	;; [unrolled: 4-line block ×20, first 2 shown]
	v_add_f64 v[15:16], v[15:16], s[2:3]
	s_mov_b32 s2, 0x652b82fe
	s_mov_b32 s3, 0x3ff71547
	v_mul_f64 v[17:18], |v[11:12]|, s[2:3]
	s_mov_b32 s2, 0xf3dde3dd
	s_mov_b32 s3, 0x3f859961
	v_fma_f64 v[13:14], v[9:10], v[15:16], -v[13:14]
	v_rndne_f64_e32 v[17:18], v[17:18]
	v_add_f64 v[13:14], v[13:14], s[2:3]
	s_mov_b32 s2, 0xfefa39ef
	s_mov_b32 s3, 0xbfe62e42
	v_fma_f64 v[11:12], v[17:18], s[2:3], |v[11:12]|
	s_mov_b32 s2, 0xf121b6f0
	s_mov_b32 s3, 0xbf984e9e
	v_cvt_i32_f64_e32 v4, v[17:18]
	v_fma_f64 v[15:16], v[9:10], v[13:14], -v[15:16]
	v_fma_f64 v[11:12], v[17:18], s[8:9], v[11:12]
	s_mov_b32 s8, 0x623fde64
	s_mov_b32 s9, 0x3ec71dee
	v_add_f64 v[15:16], v[15:16], s[2:3]
	s_mov_b32 s2, 0x6a5dcb37
	s_mov_b32 s3, 0x3e5ade15
	v_fma_f64 v[19:20], v[11:12], s[2:3], v[19:20]
	s_mov_b32 s2, 0xcea8a32d
	s_mov_b32 s3, 0x3fa93e8a
	v_fma_f64 v[13:14], v[9:10], v[15:16], -v[13:14]
	v_fma_f64 v[19:20], v[11:12], v[19:20], s[8:9]
	s_mov_b32 s8, 0x14761f6e
	s_mov_b32 s9, 0x3f2a01a0
	v_add_f64 v[13:14], v[13:14], s[2:3]
	s_mov_b32 s2, 0x7c89e6b0
	s_mov_b32 s3, 0x3efa0199
	v_fma_f64 v[19:20], v[11:12], v[19:20], s[2:3]
	s_mov_b32 s2, 0x342d06ea
	s_mov_b32 s3, 0xbfb84b70
	;; [unrolled: 10-line block ×4, first 2 shown]
	v_fma_f64 v[15:16], v[9:10], v[13:14], -v[15:16]
	v_fma_f64 v[19:20], v[11:12], v[19:20], s[8:9]
	v_add_f64 v[15:16], v[15:16], s[2:3]
	s_mov_b32 s2, 11
	s_mov_b32 s3, 0x3fe00000
	v_fma_f64 v[19:20], v[11:12], v[19:20], s[2:3]
	s_mov_b32 s2, 0x9035a22a
	s_mov_b32 s3, 0x3fe5a84e
	v_fma_f64 v[9:10], v[9:10], v[15:16], -v[13:14]
	v_fma_f64 v[15:16], v[11:12], v[19:20], 1.0
	v_add_f64 v[9:10], v[9:10], s[2:3]
	v_fma_f64 v[11:12], v[11:12], v[15:16], 1.0
	v_add_f64 v[9:10], v[9:10], -v[13:14]
	v_ldexp_f64 v[11:12], v[11:12], v4
	v_mul_f64 v[9:10], v[9:10], 0.5
	v_mul_f64 v[9:10], v[11:12], v[9:10]
                                        ; implicit-def: $vgpr11_vgpr12
.LBB7_78:
	s_andn2_saveexec_b64 s[2:3], s[0:1]
	s_cbranch_execz .LBB7_80
; %bb.79:
	s_mov_b32 s0, 0
	v_and_b32_e32 v10, 0x7fffffff, v12
	v_mov_b32_e32 v9, v11
	s_mov_b32 s1, 0x40400000
	v_div_scale_f64 v[13:14], s[8:9], v[9:10], v[9:10], s[0:1]
	v_div_scale_f64 v[9:10], vcc, s[0:1], v[9:10], s[0:1]
	s_mov_b32 s8, 0x3b39803f
	s_mov_b32 s9, 0xbc7abc9e
	v_mov_b32_e32 v21, 0xfca7ab0c
	v_mov_b32_e32 v22, 0x3e928af3
	s_mov_b32 s10, 0
	s_brev_b32 s11, 8
	v_mov_b32_e32 v4, 0x100
	v_rcp_f64_e32 v[15:16], v[13:14]
	v_fma_f64 v[17:18], -v[13:14], v[15:16], 1.0
	v_fma_f64 v[15:16], v[15:16], v[17:18], v[15:16]
	v_fma_f64 v[17:18], -v[13:14], v[15:16], 1.0
	v_fma_f64 v[15:16], v[15:16], v[17:18], v[15:16]
	v_mul_f64 v[17:18], v[9:10], v[15:16]
	v_fma_f64 v[9:10], -v[13:14], v[17:18], v[9:10]
	v_mov_b32_e32 v13, 0x66119130
	v_mov_b32_e32 v14, 0xbc5646da
	v_div_fmas_f64 v[9:10], v[9:10], v[15:16], v[17:18]
	v_cmp_lt_f64_e64 vcc, |v[11:12]|, s[10:11]
	v_cndmask_b32_e32 v4, 0, v4, vcc
	v_ldexp_f64 v[23:24], |v[11:12]|, v4
	v_div_fixup_f64 v[9:10], v[9:10], |v[11:12]|, s[0:1]
	s_mov_b32 s1, 0xbc60adb7
	s_mov_b32 s0, 0x54ca8b19
	v_rsq_f64_e32 v[25:26], v[23:24]
	v_add_f64 v[9:10], v[9:10], -2.0
	v_fma_f64 v[13:14], v[9:10], s[0:1], v[13:14]
	s_mov_b32 s1, 0x3c60adb7
	v_mul_f64 v[27:28], v[23:24], v[25:26]
	v_mul_f64 v[25:26], v[25:26], 0.5
	v_fma_f64 v[15:16], v[9:10], v[13:14], s[0:1]
	s_mov_b32 s0, 0x12d98421
	s_mov_b32 s1, 0x3c89be18
	v_fma_f64 v[29:30], -v[25:26], v[27:28], 0.5
	v_add_f64 v[15:16], v[15:16], s[0:1]
	s_mov_b32 s0, 0x76041cd
	s_mov_b32 s1, 0x3c83f3dd
	v_fma_f64 v[27:28], v[27:28], v[29:30], v[27:28]
	v_fma_f64 v[25:26], v[25:26], v[29:30], v[25:26]
	v_fma_f64 v[13:14], v[9:10], v[15:16], -v[13:14]
	v_fma_f64 v[29:30], -v[27:28], v[27:28], v[23:24]
	v_add_f64 v[13:14], v[13:14], s[0:1]
	s_mov_b32 s0, 0xabd21fe4
	s_mov_b32 s1, 0xbcb4600b
	v_fma_f64 v[15:16], v[9:10], v[13:14], -v[15:16]
	v_add_f64 v[15:16], v[15:16], s[0:1]
	s_mov_b32 s0, 0xd908de38
	s_mov_b32 s1, 0xbcb8aee7
	v_fma_f64 v[13:14], v[9:10], v[15:16], -v[13:14]
	v_add_f64 v[13:14], v[13:14], s[0:1]
	s_mov_b32 s0, 0xa3eafb1f
	s_mov_b32 s1, 0x3cdfee7d
	v_fma_f64 v[15:16], v[9:10], v[13:14], -v[15:16]
	v_add_f64 v[15:16], v[15:16], s[0:1]
	s_mov_b32 s0, 0x9094e6d7
	s_mov_b32 s1, 0x3cf12a91
	v_fma_f64 v[13:14], v[9:10], v[15:16], -v[13:14]
	v_add_f64 v[13:14], v[13:14], s[0:1]
	s_mov_b32 s0, 0x7e65629a
	s_mov_b32 s1, 0xbd0583fe
	v_fma_f64 v[15:16], v[9:10], v[13:14], -v[15:16]
	v_add_f64 v[15:16], v[15:16], s[0:1]
	s_mov_b32 s0, 0xcf68bb32
	s_mov_b32 s1, 0xbd275d99
	v_fma_f64 v[13:14], v[9:10], v[15:16], -v[13:14]
	v_add_f64 v[13:14], v[13:14], s[0:1]
	s_mov_b32 s0, 0xd5fc545
	s_mov_b32 s1, 0x3d1156ff
	v_fma_f64 v[15:16], v[9:10], v[13:14], -v[15:16]
	v_add_f64 v[15:16], v[15:16], s[0:1]
	s_mov_b32 s0, 0x6b83c073
	s_mov_b32 s1, 0x3d5b1c8c
	v_fma_f64 v[13:14], v[9:10], v[15:16], -v[13:14]
	v_add_f64 v[13:14], v[13:14], s[0:1]
	s_mov_b32 s0, 0xfa268cec
	s_mov_b32 s1, 0x3d694347
	v_fma_f64 v[15:16], v[9:10], v[13:14], -v[15:16]
	v_add_f64 v[15:16], v[15:16], s[0:1]
	s_mov_b32 s0, 0x3178d66
	s_mov_b32 s1, 0xbd7f9043
	v_fma_f64 v[13:14], v[9:10], v[15:16], -v[13:14]
	v_add_f64 v[13:14], v[13:14], s[0:1]
	s_mov_b32 s0, 0x357e7bf2
	s_mov_b32 s1, 0xbdad0fd7
	v_fma_f64 v[15:16], v[9:10], v[13:14], -v[15:16]
	v_add_f64 v[15:16], v[15:16], s[0:1]
	s_mov_b32 s0, 0x8397425
	s_mov_b32 s1, 0xbdc1511d
	v_fma_f64 v[13:14], v[9:10], v[15:16], -v[13:14]
	v_add_f64 v[13:14], v[13:14], s[0:1]
	s_mov_b32 s0, 0xabe8004f
	s_mov_b32 s1, 0x3daa24fe
	v_fma_f64 v[15:16], v[9:10], v[13:14], -v[15:16]
	v_add_f64 v[15:16], v[15:16], s[0:1]
	s_mov_b32 s0, 0xc0f46f75
	s_mov_b32 s1, 0x3e00f9cc
	v_fma_f64 v[13:14], v[9:10], v[15:16], -v[13:14]
	v_add_f64 v[17:18], v[13:14], s[0:1]
	s_mov_b32 s0, 0x652b82fe
	s_mov_b32 s1, 0x3ff71547
	v_mul_f64 v[13:14], |v[11:12]|, s[0:1]
	s_mov_b32 s0, 0xa9225b87
	s_mov_b32 s1, 0x3e2d2c64
	v_fma_f64 v[15:16], v[9:10], v[17:18], -v[15:16]
	v_rndne_f64_e32 v[13:14], v[13:14]
	v_add_f64 v[19:20], v[15:16], s[0:1]
	s_mov_b32 s0, 0xfefa39ef
	s_mov_b32 s1, 0xbfe62e42
	v_fma_f64 v[15:16], v[13:14], s[0:1], |v[11:12]|
	s_mov_b32 s0, 0x80d6d56d
	s_mov_b32 s1, 0x3e585692
	v_cvt_i32_f64_e32 v4, v[13:14]
	v_fma_f64 v[17:18], v[9:10], v[19:20], -v[17:18]
	v_fma_f64 v[15:16], v[13:14], s[8:9], v[15:16]
	s_mov_b32 s8, 0x623fde64
	s_mov_b32 s9, 0x3ec71dee
	v_add_f64 v[17:18], v[17:18], s[0:1]
	s_mov_b32 s0, 0x6a5dcb37
	s_mov_b32 s1, 0x3e5ade15
	v_fma_f64 v[21:22], v[15:16], s[0:1], v[21:22]
	s_mov_b32 s0, 0xd9cd616e
	s_mov_b32 s1, 0x3e8b8007
	v_fma_f64 v[19:20], v[9:10], v[17:18], -v[19:20]
	v_fma_f64 v[21:22], v[15:16], v[21:22], s[8:9]
	s_mov_b32 s8, 0x14761f6e
	s_mov_b32 s9, 0x3f2a01a0
	v_add_f64 v[19:20], v[19:20], s[0:1]
	s_mov_b32 s0, 0x7c89e6b0
	s_mov_b32 s1, 0x3efa0199
	v_fma_f64 v[21:22], v[15:16], v[21:22], s[0:1]
	s_mov_b32 s0, 0xc101c586
	s_mov_b32 s1, 0x3ec8412b
	;; [unrolled: 10-line block ×4, first 2 shown]
	v_fma_f64 v[17:18], v[9:10], v[19:20], -v[17:18]
	v_fma_f64 v[21:22], v[15:16], v[21:22], s[8:9]
	v_add_f64 v[17:18], v[17:18], s[0:1]
	s_mov_b32 s0, 11
	s_mov_b32 s1, 0x3fe00000
	v_fma_f64 v[21:22], v[15:16], v[21:22], s[0:1]
	s_mov_b32 s0, 0xaca809cb
	s_mov_b32 s1, 0x3fe9be62
	v_fma_f64 v[9:10], v[9:10], v[17:18], -v[19:20]
	v_fma_f64 v[17:18], v[29:30], v[25:26], v[27:28]
	v_fma_f64 v[21:22], v[15:16], v[21:22], 1.0
	v_add_f64 v[9:10], v[9:10], s[0:1]
	v_fma_f64 v[27:28], -v[17:18], v[17:18], v[23:24]
	s_mov_b32 s0, 0
	v_fma_f64 v[15:16], v[15:16], v[21:22], 1.0
	s_mov_b32 s1, 0x40900000
	v_cmp_ngt_f64_e64 s[0:1], |v[11:12]|, s[0:1]
	v_add_f64 v[9:10], v[9:10], -v[19:20]
	v_fma_f64 v[13:14], v[27:28], v[25:26], v[17:18]
	v_mov_b32_e32 v17, 0x7ff00000
	v_ldexp_f64 v[15:16], v[15:16], v4
	v_mov_b32_e32 v4, 0xffffff80
	v_mov_b32_e32 v18, 0x260
	v_cndmask_b32_e32 v4, 0, v4, vcc
	v_cmp_class_f64_e32 vcc, v[23:24], v18
	v_mul_f64 v[9:10], v[9:10], 0.5
	v_ldexp_f64 v[11:12], v[13:14], v4
	v_cndmask_b32_e64 v14, v17, v16, s[0:1]
	v_cndmask_b32_e64 v13, 0, v15, s[0:1]
	v_mul_f64 v[9:10], v[13:14], v[9:10]
	v_cndmask_b32_e32 v12, v12, v24, vcc
	v_cndmask_b32_e32 v11, v11, v23, vcc
	v_div_scale_f64 v[13:14], s[0:1], v[11:12], v[11:12], v[9:10]
	v_div_scale_f64 v[19:20], vcc, v[9:10], v[11:12], v[9:10]
	v_rcp_f64_e32 v[15:16], v[13:14]
	v_fma_f64 v[17:18], -v[13:14], v[15:16], 1.0
	v_fma_f64 v[15:16], v[15:16], v[17:18], v[15:16]
	v_fma_f64 v[17:18], -v[13:14], v[15:16], 1.0
	v_fma_f64 v[15:16], v[15:16], v[17:18], v[15:16]
	v_mul_f64 v[17:18], v[19:20], v[15:16]
	v_fma_f64 v[13:14], -v[13:14], v[17:18], v[19:20]
	v_div_fmas_f64 v[13:14], v[13:14], v[15:16], v[17:18]
	v_div_fixup_f64 v[9:10], v[13:14], v[11:12], v[9:10]
.LBB7_80:
	s_or_b64 exec, exec, s[2:3]
	global_load_dwordx2 v[13:14], v8, s[6:7]
	s_mov_b32 s0, 0
	s_mov_b32 s1, 0x40200000
                                        ; implicit-def: $vgpr11_vgpr12
	s_waitcnt vmcnt(0)
	v_cmp_le_f64_e64 s[0:1], |v[13:14]|, s[0:1]
	s_and_saveexec_b64 s[2:3], s[0:1]
	s_xor_b64 s[0:1], exec, s[2:3]
	s_cbranch_execz .LBB7_82
; %bb.81:
	v_fma_f64 v[11:12], |v[13:14]|, 0.5, -2.0
	v_mov_b32_e32 v15, 0x977da589
	v_mov_b32_e32 v16, 0x3c833362
	s_mov_b32 s3, 0xbc545cb7
	s_mov_b32 s2, 0x2134d0ef
	s_mov_b32 s8, 0x3b39803f
	s_mov_b32 s9, 0xbc7abc9e
	v_mov_b32_e32 v21, 0xfca7ab0c
	v_fma_f64 v[15:16], v[11:12], s[2:3], v[15:16]
	s_mov_b32 s3, 0x3c545cb7
	v_mov_b32_e32 v22, 0x3e928af3
	v_fma_f64 v[17:18], v[11:12], v[15:16], s[2:3]
	s_mov_b32 s2, 0x721ebbb4
	s_mov_b32 s3, 0xbcb184eb
	v_add_f64 v[17:18], v[17:18], s[2:3]
	s_mov_b32 s2, 0x93f65eba
	s_mov_b32 s3, 0x3cdee6d8
	v_fma_f64 v[15:16], v[11:12], v[17:18], -v[15:16]
	v_add_f64 v[15:16], v[15:16], s[2:3]
	s_mov_b32 s2, 0xc297fbeb
	s_mov_b32 s3, 0xbd0a5022
	v_fma_f64 v[17:18], v[11:12], v[15:16], -v[17:18]
	;; [unrolled: 4-line block ×20, first 2 shown]
	v_add_f64 v[17:18], v[17:18], s[2:3]
	s_mov_b32 s2, 0x652b82fe
	s_mov_b32 s3, 0x3ff71547
	v_mul_f64 v[19:20], |v[13:14]|, s[2:3]
	s_mov_b32 s2, 0xf3dde3dd
	s_mov_b32 s3, 0x3f859961
	v_fma_f64 v[15:16], v[11:12], v[17:18], -v[15:16]
	v_rndne_f64_e32 v[19:20], v[19:20]
	v_add_f64 v[15:16], v[15:16], s[2:3]
	s_mov_b32 s2, 0xfefa39ef
	s_mov_b32 s3, 0xbfe62e42
	v_fma_f64 v[13:14], v[19:20], s[2:3], |v[13:14]|
	s_mov_b32 s2, 0xf121b6f0
	s_mov_b32 s3, 0xbf984e9e
	v_cvt_i32_f64_e32 v4, v[19:20]
	v_fma_f64 v[17:18], v[11:12], v[15:16], -v[17:18]
	v_fma_f64 v[13:14], v[19:20], s[8:9], v[13:14]
	s_mov_b32 s8, 0x623fde64
	s_mov_b32 s9, 0x3ec71dee
	v_add_f64 v[17:18], v[17:18], s[2:3]
	s_mov_b32 s2, 0x6a5dcb37
	s_mov_b32 s3, 0x3e5ade15
	v_fma_f64 v[21:22], v[13:14], s[2:3], v[21:22]
	s_mov_b32 s2, 0xcea8a32d
	s_mov_b32 s3, 0x3fa93e8a
	v_fma_f64 v[15:16], v[11:12], v[17:18], -v[15:16]
	v_fma_f64 v[21:22], v[13:14], v[21:22], s[8:9]
	s_mov_b32 s8, 0x14761f6e
	s_mov_b32 s9, 0x3f2a01a0
	v_add_f64 v[15:16], v[15:16], s[2:3]
	s_mov_b32 s2, 0x7c89e6b0
	s_mov_b32 s3, 0x3efa0199
	v_fma_f64 v[21:22], v[13:14], v[21:22], s[2:3]
	s_mov_b32 s2, 0x342d06ea
	s_mov_b32 s3, 0xbfb84b70
	;; [unrolled: 10-line block ×4, first 2 shown]
	v_fma_f64 v[17:18], v[11:12], v[15:16], -v[17:18]
	v_fma_f64 v[21:22], v[13:14], v[21:22], s[8:9]
	v_add_f64 v[17:18], v[17:18], s[2:3]
	s_mov_b32 s2, 11
	s_mov_b32 s3, 0x3fe00000
	v_fma_f64 v[21:22], v[13:14], v[21:22], s[2:3]
	s_mov_b32 s2, 0x9035a22a
	s_mov_b32 s3, 0x3fe5a84e
	v_fma_f64 v[11:12], v[11:12], v[17:18], -v[15:16]
	v_fma_f64 v[17:18], v[13:14], v[21:22], 1.0
	v_add_f64 v[11:12], v[11:12], s[2:3]
	v_fma_f64 v[13:14], v[13:14], v[17:18], 1.0
	v_add_f64 v[11:12], v[11:12], -v[15:16]
	v_ldexp_f64 v[13:14], v[13:14], v4
	v_mul_f64 v[11:12], v[11:12], 0.5
	v_mul_f64 v[11:12], v[13:14], v[11:12]
                                        ; implicit-def: $vgpr13_vgpr14
.LBB7_82:
	s_andn2_saveexec_b64 s[2:3], s[0:1]
	s_cbranch_execz .LBB7_84
; %bb.83:
	s_mov_b32 s0, 0
	v_and_b32_e32 v12, 0x7fffffff, v14
	v_mov_b32_e32 v11, v13
	s_mov_b32 s1, 0x40400000
	v_div_scale_f64 v[15:16], s[8:9], v[11:12], v[11:12], s[0:1]
	v_div_scale_f64 v[11:12], vcc, s[0:1], v[11:12], s[0:1]
	s_mov_b32 s8, 0x3b39803f
	s_mov_b32 s9, 0xbc7abc9e
	v_mov_b32_e32 v23, 0xfca7ab0c
	v_mov_b32_e32 v24, 0x3e928af3
	s_mov_b32 s10, 0x623fde64
	s_mov_b32 s11, 0x3ec71dee
	v_mov_b32_e32 v4, 0x100
	v_mov_b32_e32 v8, 0x7ff00000
	v_rcp_f64_e32 v[17:18], v[15:16]
	v_fma_f64 v[19:20], -v[15:16], v[17:18], 1.0
	v_fma_f64 v[17:18], v[17:18], v[19:20], v[17:18]
	v_fma_f64 v[19:20], -v[15:16], v[17:18], 1.0
	v_fma_f64 v[17:18], v[17:18], v[19:20], v[17:18]
	v_mul_f64 v[19:20], v[11:12], v[17:18]
	v_fma_f64 v[11:12], -v[15:16], v[19:20], v[11:12]
	v_mov_b32_e32 v15, 0x66119130
	v_mov_b32_e32 v16, 0xbc5646da
	v_div_fmas_f64 v[11:12], v[11:12], v[17:18], v[19:20]
	v_div_fixup_f64 v[11:12], v[11:12], |v[13:14]|, s[0:1]
	s_mov_b32 s1, 0xbc60adb7
	s_mov_b32 s0, 0x54ca8b19
	v_add_f64 v[11:12], v[11:12], -2.0
	v_fma_f64 v[15:16], v[11:12], s[0:1], v[15:16]
	s_mov_b32 s1, 0x3c60adb7
	v_fma_f64 v[17:18], v[11:12], v[15:16], s[0:1]
	s_mov_b32 s0, 0x12d98421
	s_mov_b32 s1, 0x3c89be18
	v_add_f64 v[17:18], v[17:18], s[0:1]
	s_mov_b32 s0, 0x76041cd
	s_mov_b32 s1, 0x3c83f3dd
	v_fma_f64 v[15:16], v[11:12], v[17:18], -v[15:16]
	v_add_f64 v[15:16], v[15:16], s[0:1]
	s_mov_b32 s0, 0xabd21fe4
	s_mov_b32 s1, 0xbcb4600b
	v_fma_f64 v[17:18], v[11:12], v[15:16], -v[17:18]
	;; [unrolled: 4-line block ×15, first 2 shown]
	v_add_f64 v[19:20], v[15:16], s[0:1]
	s_mov_b32 s0, 0x652b82fe
	s_mov_b32 s1, 0x3ff71547
	v_mul_f64 v[15:16], |v[13:14]|, s[0:1]
	s_mov_b32 s0, 0xa9225b87
	s_mov_b32 s1, 0x3e2d2c64
	v_fma_f64 v[17:18], v[11:12], v[19:20], -v[17:18]
	v_rndne_f64_e32 v[15:16], v[15:16]
	v_add_f64 v[17:18], v[17:18], s[0:1]
	s_mov_b32 s0, 0xfefa39ef
	s_mov_b32 s1, 0xbfe62e42
	v_fma_f64 v[21:22], v[15:16], s[0:1], |v[13:14]|
	s_mov_b32 s0, 0x80d6d56d
	s_mov_b32 s1, 0x3e585692
	v_fma_f64 v[19:20], v[11:12], v[17:18], -v[19:20]
	v_fma_f64 v[21:22], v[15:16], s[8:9], v[21:22]
	s_mov_b32 s8, 0xd9cd616e
	s_mov_b32 s9, 0x3e8b8007
	v_add_f64 v[19:20], v[19:20], s[0:1]
	s_mov_b32 s0, 0x6a5dcb37
	s_mov_b32 s1, 0x3e5ade15
	v_fma_f64 v[23:24], v[21:22], s[0:1], v[23:24]
	s_mov_b32 s0, 0
	s_brev_b32 s1, 8
	v_cmp_lt_f64_e64 vcc, |v[13:14]|, s[0:1]
	s_mov_b32 s0, 0x7c89e6b0
	v_fma_f64 v[17:18], v[11:12], v[19:20], -v[17:18]
	s_mov_b32 s1, 0x3efa0199
	v_fma_f64 v[23:24], v[21:22], v[23:24], s[10:11]
	v_cndmask_b32_e32 v4, 0, v4, vcc
	v_ldexp_f64 v[25:26], |v[13:14]|, v4
	v_add_f64 v[17:18], v[17:18], s[8:9]
	s_mov_b32 s8, 0x14761f6e
	s_mov_b32 s9, 0x3f2a01a0
	v_fma_f64 v[23:24], v[21:22], v[23:24], s[0:1]
	s_mov_b32 s0, 0xc101c586
	s_mov_b32 s1, 0x3ec8412b
	v_cvt_i32_f64_e32 v4, v[15:16]
	v_rsq_f64_e32 v[27:28], v[25:26]
	v_fma_f64 v[19:20], v[11:12], v[17:18], -v[19:20]
	v_fma_f64 v[23:24], v[21:22], v[23:24], s[8:9]
	s_mov_b32 s8, 0x11122322
	s_mov_b32 s9, 0x3f811111
	v_add_f64 v[19:20], v[19:20], s[0:1]
	s_mov_b32 s0, 0x1852b7b0
	s_mov_b32 s1, 0x3f56c16c
	v_fma_f64 v[23:24], v[21:22], v[23:24], s[0:1]
	s_mov_b32 s0, 0x78999e52
	s_mov_b32 s1, 0x3f120fa3
	v_mul_f64 v[29:30], v[25:26], v[27:28]
	v_fma_f64 v[17:18], v[11:12], v[19:20], -v[17:18]
	v_mul_f64 v[27:28], v[27:28], 0.5
	v_fma_f64 v[23:24], v[21:22], v[23:24], s[8:9]
	s_mov_b32 s8, 0x55555511
	s_mov_b32 s9, 0x3fc55555
	v_add_f64 v[17:18], v[17:18], s[0:1]
	s_mov_b32 s0, 0x555502a1
	s_mov_b32 s1, 0x3fa55555
	v_fma_f64 v[31:32], -v[27:28], v[29:30], 0.5
	v_fma_f64 v[23:24], v[21:22], v[23:24], s[0:1]
	s_mov_b32 s0, 0xa2e59049
	s_mov_b32 s1, 0x3f6b998c
	v_fma_f64 v[19:20], v[11:12], v[17:18], -v[19:20]
	v_fma_f64 v[29:30], v[29:30], v[31:32], v[29:30]
	v_fma_f64 v[23:24], v[21:22], v[23:24], s[8:9]
	;; [unrolled: 1-line block ×3, first 2 shown]
	v_add_f64 v[19:20], v[19:20], s[0:1]
	s_mov_b32 s0, 11
	s_mov_b32 s1, 0x3fe00000
	v_fma_f64 v[31:32], -v[29:30], v[29:30], v[25:26]
	v_fma_f64 v[23:24], v[21:22], v[23:24], s[0:1]
	s_mov_b32 s0, 0xaca809cb
	s_mov_b32 s1, 0x3fe9be62
	v_fma_f64 v[11:12], v[11:12], v[19:20], -v[17:18]
	v_fma_f64 v[19:20], v[31:32], v[27:28], v[29:30]
	v_fma_f64 v[23:24], v[21:22], v[23:24], 1.0
	v_add_f64 v[11:12], v[11:12], s[0:1]
	s_mov_b32 s0, 0
	s_mov_b32 s1, 0x40900000
	v_fma_f64 v[29:30], -v[19:20], v[19:20], v[25:26]
	v_fma_f64 v[21:22], v[21:22], v[23:24], 1.0
	v_cmp_ngt_f64_e64 s[0:1], |v[13:14]|, s[0:1]
	v_add_f64 v[11:12], v[11:12], -v[17:18]
	v_fma_f64 v[15:16], v[29:30], v[27:28], v[19:20]
	v_ldexp_f64 v[17:18], v[21:22], v4
	v_mov_b32_e32 v4, 0xffffff80
	v_mov_b32_e32 v19, 0x260
	v_cndmask_b32_e32 v4, 0, v4, vcc
	v_mul_f64 v[11:12], v[11:12], 0.5
	v_cmp_class_f64_e32 vcc, v[25:26], v19
	v_ldexp_f64 v[13:14], v[15:16], v4
	v_cndmask_b32_e64 v16, v8, v18, s[0:1]
	v_cndmask_b32_e64 v15, 0, v17, s[0:1]
	v_mul_f64 v[11:12], v[15:16], v[11:12]
	v_cndmask_b32_e32 v14, v14, v26, vcc
	v_cndmask_b32_e32 v13, v13, v25, vcc
	v_div_scale_f64 v[15:16], s[0:1], v[13:14], v[13:14], v[11:12]
	v_div_scale_f64 v[21:22], vcc, v[11:12], v[13:14], v[11:12]
	v_rcp_f64_e32 v[17:18], v[15:16]
	v_fma_f64 v[19:20], -v[15:16], v[17:18], 1.0
	v_fma_f64 v[17:18], v[17:18], v[19:20], v[17:18]
	v_fma_f64 v[19:20], -v[15:16], v[17:18], 1.0
	v_fma_f64 v[17:18], v[17:18], v[19:20], v[17:18]
	v_mul_f64 v[19:20], v[21:22], v[17:18]
	v_fma_f64 v[15:16], -v[15:16], v[19:20], v[21:22]
	v_div_fmas_f64 v[15:16], v[15:16], v[17:18], v[19:20]
	v_div_fixup_f64 v[11:12], v[15:16], v[13:14], v[11:12]
.LBB7_84:
	s_or_b64 exec, exec, s[2:3]
	global_load_dwordx2 v[4:5], v5, s[6:7]
	s_mov_b32 s0, 0
	s_mov_b32 s1, 0x40200000
                                        ; implicit-def: $vgpr13_vgpr14
	s_waitcnt vmcnt(0)
	v_cmp_le_f64_e64 s[0:1], |v[4:5]|, s[0:1]
	s_and_saveexec_b64 s[2:3], s[0:1]
	s_xor_b64 s[0:1], exec, s[2:3]
	s_cbranch_execz .LBB7_86
; %bb.85:
	v_fma_f64 v[13:14], |v[4:5]|, 0.5, -2.0
	v_mov_b32_e32 v15, 0x977da589
	v_mov_b32_e32 v16, 0x3c833362
	s_mov_b32 s3, 0xbc545cb7
	s_mov_b32 s2, 0x2134d0ef
	;; [unrolled: 1-line block ×4, first 2 shown]
	v_mov_b32_e32 v21, 0xfca7ab0c
	v_fma_f64 v[15:16], v[13:14], s[2:3], v[15:16]
	s_mov_b32 s3, 0x3c545cb7
	v_mov_b32_e32 v22, 0x3e928af3
	v_fma_f64 v[17:18], v[13:14], v[15:16], s[2:3]
	s_mov_b32 s2, 0x721ebbb4
	s_mov_b32 s3, 0xbcb184eb
	v_add_f64 v[17:18], v[17:18], s[2:3]
	s_mov_b32 s2, 0x93f65eba
	s_mov_b32 s3, 0x3cdee6d8
	v_fma_f64 v[15:16], v[13:14], v[17:18], -v[15:16]
	v_add_f64 v[15:16], v[15:16], s[2:3]
	s_mov_b32 s2, 0xc297fbeb
	s_mov_b32 s3, 0xbd0a5022
	v_fma_f64 v[17:18], v[13:14], v[15:16], -v[17:18]
	;; [unrolled: 4-line block ×20, first 2 shown]
	v_add_f64 v[17:18], v[17:18], s[2:3]
	s_mov_b32 s2, 0x652b82fe
	s_mov_b32 s3, 0x3ff71547
	v_mul_f64 v[19:20], |v[4:5]|, s[2:3]
	s_mov_b32 s2, 0xf3dde3dd
	s_mov_b32 s3, 0x3f859961
	v_fma_f64 v[15:16], v[13:14], v[17:18], -v[15:16]
	v_rndne_f64_e32 v[19:20], v[19:20]
	v_add_f64 v[15:16], v[15:16], s[2:3]
	s_mov_b32 s2, 0xfefa39ef
	s_mov_b32 s3, 0xbfe62e42
	v_fma_f64 v[4:5], v[19:20], s[2:3], |v[4:5]|
	s_mov_b32 s2, 0xf121b6f0
	s_mov_b32 s3, 0xbf984e9e
	v_cvt_i32_f64_e32 v8, v[19:20]
	v_fma_f64 v[17:18], v[13:14], v[15:16], -v[17:18]
	v_fma_f64 v[4:5], v[19:20], s[6:7], v[4:5]
	s_mov_b32 s6, 0x623fde64
	s_mov_b32 s7, 0x3ec71dee
	v_add_f64 v[17:18], v[17:18], s[2:3]
	s_mov_b32 s2, 0x6a5dcb37
	s_mov_b32 s3, 0x3e5ade15
	v_fma_f64 v[21:22], v[4:5], s[2:3], v[21:22]
	s_mov_b32 s2, 0xcea8a32d
	s_mov_b32 s3, 0x3fa93e8a
	v_fma_f64 v[15:16], v[13:14], v[17:18], -v[15:16]
	v_fma_f64 v[21:22], v[4:5], v[21:22], s[6:7]
	s_mov_b32 s6, 0x14761f6e
	s_mov_b32 s7, 0x3f2a01a0
	v_add_f64 v[15:16], v[15:16], s[2:3]
	s_mov_b32 s2, 0x7c89e6b0
	s_mov_b32 s3, 0x3efa0199
	v_fma_f64 v[21:22], v[4:5], v[21:22], s[2:3]
	s_mov_b32 s2, 0x342d06ea
	s_mov_b32 s3, 0xbfb84b70
	;; [unrolled: 10-line block ×4, first 2 shown]
	v_fma_f64 v[17:18], v[13:14], v[15:16], -v[17:18]
	v_fma_f64 v[21:22], v[4:5], v[21:22], s[6:7]
	v_add_f64 v[17:18], v[17:18], s[2:3]
	s_mov_b32 s2, 11
	s_mov_b32 s3, 0x3fe00000
	v_fma_f64 v[21:22], v[4:5], v[21:22], s[2:3]
	s_mov_b32 s2, 0x9035a22a
	s_mov_b32 s3, 0x3fe5a84e
	v_fma_f64 v[13:14], v[13:14], v[17:18], -v[15:16]
	v_fma_f64 v[17:18], v[4:5], v[21:22], 1.0
	v_add_f64 v[13:14], v[13:14], s[2:3]
	v_fma_f64 v[4:5], v[4:5], v[17:18], 1.0
	v_add_f64 v[13:14], v[13:14], -v[15:16]
	v_ldexp_f64 v[4:5], v[4:5], v8
	v_mul_f64 v[13:14], v[13:14], 0.5
	v_mul_f64 v[13:14], v[4:5], v[13:14]
                                        ; implicit-def: $vgpr4_vgpr5
.LBB7_86:
	s_andn2_saveexec_b64 s[2:3], s[0:1]
	s_cbranch_execz .LBB7_88
; %bb.87:
	s_mov_b32 s0, 0
	v_and_b32_e32 v14, 0x7fffffff, v5
	v_mov_b32_e32 v13, v4
	s_mov_b32 s1, 0x40400000
	v_div_scale_f64 v[15:16], s[6:7], v[13:14], v[13:14], s[0:1]
	v_div_scale_f64 v[13:14], vcc, s[0:1], v[13:14], s[0:1]
	s_mov_b32 s6, 0x3b39803f
	s_mov_b32 s7, 0xbc7abc9e
	v_mov_b32_e32 v23, 0xfca7ab0c
	v_mov_b32_e32 v24, 0x3e928af3
	s_mov_b32 s8, 0x623fde64
	s_mov_b32 s9, 0x3ec71dee
	v_mov_b32_e32 v8, 0x100
	v_rcp_f64_e32 v[17:18], v[15:16]
	v_fma_f64 v[19:20], -v[15:16], v[17:18], 1.0
	v_fma_f64 v[17:18], v[17:18], v[19:20], v[17:18]
	v_fma_f64 v[19:20], -v[15:16], v[17:18], 1.0
	v_fma_f64 v[17:18], v[17:18], v[19:20], v[17:18]
	v_mul_f64 v[19:20], v[13:14], v[17:18]
	v_fma_f64 v[13:14], -v[15:16], v[19:20], v[13:14]
	v_mov_b32_e32 v15, 0x66119130
	v_mov_b32_e32 v16, 0xbc5646da
	v_div_fmas_f64 v[13:14], v[13:14], v[17:18], v[19:20]
	v_div_fixup_f64 v[13:14], v[13:14], |v[4:5]|, s[0:1]
	s_mov_b32 s1, 0xbc60adb7
	s_mov_b32 s0, 0x54ca8b19
	v_add_f64 v[13:14], v[13:14], -2.0
	v_fma_f64 v[15:16], v[13:14], s[0:1], v[15:16]
	s_mov_b32 s1, 0x3c60adb7
	v_fma_f64 v[17:18], v[13:14], v[15:16], s[0:1]
	s_mov_b32 s0, 0x12d98421
	s_mov_b32 s1, 0x3c89be18
	v_add_f64 v[17:18], v[17:18], s[0:1]
	s_mov_b32 s0, 0x76041cd
	s_mov_b32 s1, 0x3c83f3dd
	v_fma_f64 v[15:16], v[13:14], v[17:18], -v[15:16]
	v_add_f64 v[15:16], v[15:16], s[0:1]
	s_mov_b32 s0, 0xabd21fe4
	s_mov_b32 s1, 0xbcb4600b
	v_fma_f64 v[17:18], v[13:14], v[15:16], -v[17:18]
	v_add_f64 v[17:18], v[17:18], s[0:1]
	s_mov_b32 s0, 0xd908de38
	s_mov_b32 s1, 0xbcb8aee7
	v_fma_f64 v[15:16], v[13:14], v[17:18], -v[15:16]
	v_add_f64 v[15:16], v[15:16], s[0:1]
	s_mov_b32 s0, 0xa3eafb1f
	s_mov_b32 s1, 0x3cdfee7d
	v_fma_f64 v[17:18], v[13:14], v[15:16], -v[17:18]
	v_add_f64 v[17:18], v[17:18], s[0:1]
	s_mov_b32 s0, 0x9094e6d7
	s_mov_b32 s1, 0x3cf12a91
	v_fma_f64 v[15:16], v[13:14], v[17:18], -v[15:16]
	v_add_f64 v[15:16], v[15:16], s[0:1]
	s_mov_b32 s0, 0x7e65629a
	s_mov_b32 s1, 0xbd0583fe
	v_fma_f64 v[17:18], v[13:14], v[15:16], -v[17:18]
	v_add_f64 v[17:18], v[17:18], s[0:1]
	s_mov_b32 s0, 0xcf68bb32
	s_mov_b32 s1, 0xbd275d99
	v_fma_f64 v[15:16], v[13:14], v[17:18], -v[15:16]
	v_add_f64 v[15:16], v[15:16], s[0:1]
	s_mov_b32 s0, 0xd5fc545
	s_mov_b32 s1, 0x3d1156ff
	v_fma_f64 v[17:18], v[13:14], v[15:16], -v[17:18]
	v_add_f64 v[17:18], v[17:18], s[0:1]
	s_mov_b32 s0, 0x6b83c073
	s_mov_b32 s1, 0x3d5b1c8c
	v_fma_f64 v[15:16], v[13:14], v[17:18], -v[15:16]
	v_add_f64 v[15:16], v[15:16], s[0:1]
	s_mov_b32 s0, 0xfa268cec
	s_mov_b32 s1, 0x3d694347
	v_fma_f64 v[17:18], v[13:14], v[15:16], -v[17:18]
	v_add_f64 v[17:18], v[17:18], s[0:1]
	s_mov_b32 s0, 0x3178d66
	s_mov_b32 s1, 0xbd7f9043
	v_fma_f64 v[15:16], v[13:14], v[17:18], -v[15:16]
	v_add_f64 v[15:16], v[15:16], s[0:1]
	s_mov_b32 s0, 0x357e7bf2
	s_mov_b32 s1, 0xbdad0fd7
	v_fma_f64 v[17:18], v[13:14], v[15:16], -v[17:18]
	v_add_f64 v[17:18], v[17:18], s[0:1]
	s_mov_b32 s0, 0x8397425
	s_mov_b32 s1, 0xbdc1511d
	v_fma_f64 v[15:16], v[13:14], v[17:18], -v[15:16]
	v_add_f64 v[15:16], v[15:16], s[0:1]
	s_mov_b32 s0, 0xabe8004f
	s_mov_b32 s1, 0x3daa24fe
	v_fma_f64 v[17:18], v[13:14], v[15:16], -v[17:18]
	v_add_f64 v[17:18], v[17:18], s[0:1]
	s_mov_b32 s0, 0xc0f46f75
	s_mov_b32 s1, 0x3e00f9cc
	v_fma_f64 v[15:16], v[13:14], v[17:18], -v[15:16]
	v_add_f64 v[19:20], v[15:16], s[0:1]
	s_mov_b32 s0, 0x652b82fe
	s_mov_b32 s1, 0x3ff71547
	v_mul_f64 v[15:16], |v[4:5]|, s[0:1]
	s_mov_b32 s0, 0xa9225b87
	s_mov_b32 s1, 0x3e2d2c64
	v_fma_f64 v[17:18], v[13:14], v[19:20], -v[17:18]
	v_rndne_f64_e32 v[15:16], v[15:16]
	v_add_f64 v[17:18], v[17:18], s[0:1]
	s_mov_b32 s0, 0xfefa39ef
	s_mov_b32 s1, 0xbfe62e42
	v_fma_f64 v[21:22], v[15:16], s[0:1], |v[4:5]|
	s_mov_b32 s0, 0x80d6d56d
	s_mov_b32 s1, 0x3e585692
	v_fma_f64 v[19:20], v[13:14], v[17:18], -v[19:20]
	v_fma_f64 v[21:22], v[15:16], s[6:7], v[21:22]
	s_mov_b32 s6, 0xd9cd616e
	s_mov_b32 s7, 0x3e8b8007
	v_add_f64 v[19:20], v[19:20], s[0:1]
	s_mov_b32 s0, 0x6a5dcb37
	s_mov_b32 s1, 0x3e5ade15
	v_fma_f64 v[23:24], v[21:22], s[0:1], v[23:24]
	s_mov_b32 s0, 0
	s_brev_b32 s1, 8
	v_cmp_lt_f64_e64 vcc, |v[4:5]|, s[0:1]
	s_mov_b32 s0, 0x7c89e6b0
	v_fma_f64 v[17:18], v[13:14], v[19:20], -v[17:18]
	s_mov_b32 s1, 0x3efa0199
	v_fma_f64 v[23:24], v[21:22], v[23:24], s[8:9]
	v_cndmask_b32_e32 v8, 0, v8, vcc
	v_ldexp_f64 v[25:26], |v[4:5]|, v8
	v_add_f64 v[17:18], v[17:18], s[6:7]
	s_mov_b32 s6, 0x14761f6e
	s_mov_b32 s7, 0x3f2a01a0
	v_fma_f64 v[23:24], v[21:22], v[23:24], s[0:1]
	s_mov_b32 s0, 0xc101c586
	s_mov_b32 s1, 0x3ec8412b
	v_cvt_i32_f64_e32 v8, v[15:16]
	v_rsq_f64_e32 v[27:28], v[25:26]
	v_fma_f64 v[19:20], v[13:14], v[17:18], -v[19:20]
	v_fma_f64 v[23:24], v[21:22], v[23:24], s[6:7]
	s_mov_b32 s6, 0x11122322
	s_mov_b32 s7, 0x3f811111
	v_add_f64 v[19:20], v[19:20], s[0:1]
	s_mov_b32 s0, 0x1852b7b0
	s_mov_b32 s1, 0x3f56c16c
	v_fma_f64 v[23:24], v[21:22], v[23:24], s[0:1]
	s_mov_b32 s0, 0x78999e52
	s_mov_b32 s1, 0x3f120fa3
	v_mul_f64 v[29:30], v[25:26], v[27:28]
	v_fma_f64 v[17:18], v[13:14], v[19:20], -v[17:18]
	v_mul_f64 v[27:28], v[27:28], 0.5
	v_fma_f64 v[23:24], v[21:22], v[23:24], s[6:7]
	s_mov_b32 s6, 0x55555511
	s_mov_b32 s7, 0x3fc55555
	v_add_f64 v[17:18], v[17:18], s[0:1]
	s_mov_b32 s0, 0x555502a1
	s_mov_b32 s1, 0x3fa55555
	v_fma_f64 v[31:32], -v[27:28], v[29:30], 0.5
	v_fma_f64 v[23:24], v[21:22], v[23:24], s[0:1]
	s_mov_b32 s0, 0xa2e59049
	s_mov_b32 s1, 0x3f6b998c
	v_fma_f64 v[19:20], v[13:14], v[17:18], -v[19:20]
	v_fma_f64 v[29:30], v[29:30], v[31:32], v[29:30]
	v_fma_f64 v[23:24], v[21:22], v[23:24], s[6:7]
	;; [unrolled: 1-line block ×3, first 2 shown]
	v_add_f64 v[19:20], v[19:20], s[0:1]
	s_mov_b32 s0, 11
	s_mov_b32 s1, 0x3fe00000
	v_fma_f64 v[31:32], -v[29:30], v[29:30], v[25:26]
	v_fma_f64 v[23:24], v[21:22], v[23:24], s[0:1]
	s_mov_b32 s0, 0xaca809cb
	s_mov_b32 s1, 0x3fe9be62
	v_fma_f64 v[13:14], v[13:14], v[19:20], -v[17:18]
	v_fma_f64 v[19:20], v[31:32], v[27:28], v[29:30]
	v_fma_f64 v[23:24], v[21:22], v[23:24], 1.0
	v_add_f64 v[13:14], v[13:14], s[0:1]
	s_mov_b32 s0, 0
	s_mov_b32 s1, 0x40900000
	v_fma_f64 v[29:30], -v[19:20], v[19:20], v[25:26]
	v_fma_f64 v[21:22], v[21:22], v[23:24], 1.0
	v_cmp_ngt_f64_e64 s[0:1], |v[4:5]|, s[0:1]
	v_add_f64 v[13:14], v[13:14], -v[17:18]
	v_fma_f64 v[15:16], v[29:30], v[27:28], v[19:20]
	v_ldexp_f64 v[17:18], v[21:22], v8
	v_mov_b32_e32 v8, 0xffffff80
	v_mov_b32_e32 v19, 0x7ff00000
	;; [unrolled: 1-line block ×3, first 2 shown]
	v_mul_f64 v[4:5], v[13:14], 0.5
	v_cndmask_b32_e32 v8, 0, v8, vcc
	v_cmp_class_f64_e32 vcc, v[25:26], v20
	v_ldexp_f64 v[13:14], v[15:16], v8
	v_cndmask_b32_e64 v16, v19, v18, s[0:1]
	v_cndmask_b32_e64 v15, 0, v17, s[0:1]
	v_mul_f64 v[4:5], v[15:16], v[4:5]
	v_cndmask_b32_e32 v14, v14, v26, vcc
	v_cndmask_b32_e32 v13, v13, v25, vcc
	v_div_scale_f64 v[15:16], s[0:1], v[13:14], v[13:14], v[4:5]
	v_div_scale_f64 v[21:22], vcc, v[4:5], v[13:14], v[4:5]
	v_rcp_f64_e32 v[17:18], v[15:16]
	v_fma_f64 v[19:20], -v[15:16], v[17:18], 1.0
	v_fma_f64 v[17:18], v[17:18], v[19:20], v[17:18]
	v_fma_f64 v[19:20], -v[15:16], v[17:18], 1.0
	v_fma_f64 v[17:18], v[17:18], v[19:20], v[17:18]
	v_mul_f64 v[19:20], v[21:22], v[17:18]
	v_fma_f64 v[15:16], -v[15:16], v[19:20], v[21:22]
	v_div_fmas_f64 v[15:16], v[15:16], v[17:18], v[19:20]
	v_div_fixup_f64 v[13:14], v[15:16], v[13:14], v[4:5]
.LBB7_88:
	s_or_b64 exec, exec, s[2:3]
	global_store_dwordx2 v0, v[6:7], s[4:5]
	global_store_dwordx2 v1, v[9:10], s[4:5]
	;; [unrolled: 1-line block ×4, first 2 shown]
	s_endpgm
.LBB7_89:
	v_mov_b32_e32 v0, 0
	v_mov_b32_e32 v2, 0
	s_branch .LBB7_95
.LBB7_90:
	v_mov_b32_e32 v0, 0
	v_mov_b32_e32 v2, 0
	s_branch .LBB7_115
.LBB7_91:
	s_mov_b32 s57, 0
	v_mov_b32_e32 v0, 0
	v_mov_b32_e32 v2, 0
	;; [unrolled: 1-line block ×3, first 2 shown]
.LBB7_92:
	s_and_b32 s4, s58, 3
	s_cmp_eq_u32 s4, 0
	s_cbranch_scc1 .LBB7_95
; %bb.93:
	s_lshl_b32 s0, s57, 3
	s_add_u32 s0, s34, s0
	s_addc_u32 s1, s35, 0
	s_add_u32 s0, s0, 0xc4
	s_addc_u32 s1, s1, 0
	s_mul_i32 s2, s57, 12
	s_add_u32 s2, s34, s2
	s_addc_u32 s3, s35, 0
.LBB7_94:                               ; =>This Inner Loop Header: Depth=1
	s_load_dwordx2 s[6:7], s[2:3], 0x4
	s_load_dword s5, s[2:3], 0xc
	s_load_dwordx2 s[8:9], s[0:1], 0x0
	s_add_u32 s2, s2, 12
	s_addc_u32 s3, s3, 0
	s_waitcnt lgkmcnt(0)
	v_mul_hi_u32 v3, s7, v1
	s_add_u32 s0, s0, 8
	s_addc_u32 s1, s1, 0
	s_add_i32 s4, s4, -1
	v_add_u32_e32 v3, v1, v3
	v_lshrrev_b32_e32 v4, s5, v3
	v_mul_lo_u32 v3, v4, s6
	s_cmp_lg_u32 s4, 0
	v_sub_u32_e32 v3, v1, v3
	v_mad_u64_u32 v[0:1], s[6:7], v3, s8, v[0:1]
	v_mad_u64_u32 v[2:3], s[6:7], v3, s9, v[2:3]
	v_mov_b32_e32 v1, v4
	s_cbranch_scc1 .LBB7_94
.LBB7_95:
	s_cbranch_execnz .LBB7_98
.LBB7_96:
	s_waitcnt lgkmcnt(0)
	v_mul_hi_u32 v0, s25, v9
	s_andn2_b64 vcc, exec, s[42:43]
	v_add_u32_e32 v0, v9, v0
	v_lshrrev_b32_e32 v1, s26, v0
	v_mul_lo_u32 v0, v1, s24
	v_sub_u32_e32 v2, v9, v0
	v_mul_lo_u32 v0, v2, s20
	v_mul_lo_u32 v2, v2, s21
	s_cbranch_vccnz .LBB7_98
; %bb.97:
	v_mul_hi_u32 v3, s40, v1
	v_add_u32_e32 v3, v1, v3
	v_lshrrev_b32_e32 v3, s41, v3
	v_mul_lo_u32 v3, v3, s27
	v_sub_u32_e32 v3, v1, v3
	v_mad_u64_u32 v[0:1], s[0:1], v3, s22, v[0:1]
	v_mad_u64_u32 v[2:3], s[0:1], v3, s23, v[2:3]
.LBB7_98:
	s_waitcnt lgkmcnt(0)
	global_load_dwordx2 v[1:2], v2, s[18:19]
	s_mov_b32 s0, 0
	s_mov_b32 s1, 0x40200000
                                        ; implicit-def: $vgpr3_vgpr4
	s_waitcnt vmcnt(0)
	v_cmp_le_f64_e64 s[0:1], |v[1:2]|, s[0:1]
	s_and_saveexec_b64 s[2:3], s[0:1]
	s_xor_b64 s[0:1], exec, s[2:3]
	s_cbranch_execz .LBB7_100
; %bb.99:
	v_fma_f64 v[3:4], |v[1:2]|, 0.5, -2.0
	v_mov_b32_e32 v5, 0x977da589
	v_mov_b32_e32 v6, 0x3c833362
	s_mov_b32 s3, 0xbc545cb7
	s_mov_b32 s2, 0x2134d0ef
	;; [unrolled: 1-line block ×4, first 2 shown]
	v_mov_b32_e32 v12, 0xfca7ab0c
	v_fma_f64 v[5:6], v[3:4], s[2:3], v[5:6]
	s_mov_b32 s3, 0x3c545cb7
	v_mov_b32_e32 v13, 0x3e928af3
	v_fma_f64 v[7:8], v[3:4], v[5:6], s[2:3]
	s_mov_b32 s2, 0x721ebbb4
	s_mov_b32 s3, 0xbcb184eb
	v_add_f64 v[7:8], v[7:8], s[2:3]
	s_mov_b32 s2, 0x93f65eba
	s_mov_b32 s3, 0x3cdee6d8
	v_fma_f64 v[5:6], v[3:4], v[7:8], -v[5:6]
	v_add_f64 v[5:6], v[5:6], s[2:3]
	s_mov_b32 s2, 0xc297fbeb
	s_mov_b32 s3, 0xbd0a5022
	v_fma_f64 v[7:8], v[3:4], v[5:6], -v[7:8]
	v_add_f64 v[7:8], v[7:8], s[2:3]
	s_mov_b32 s2, 0x4b262627
	s_mov_b32 s3, 0x3d359b46
	v_fma_f64 v[5:6], v[3:4], v[7:8], -v[5:6]
	v_add_f64 v[5:6], v[5:6], s[2:3]
	s_mov_b32 s2, 0x62ee1af0
	s_mov_b32 s3, 0xbd61164c
	v_fma_f64 v[7:8], v[3:4], v[5:6], -v[7:8]
	v_add_f64 v[7:8], v[7:8], s[2:3]
	s_mov_b32 s2, 0xe19bd324
	s_mov_b32 s3, 0x3d89fe2f
	v_fma_f64 v[5:6], v[3:4], v[7:8], -v[5:6]
	v_add_f64 v[5:6], v[5:6], s[2:3]
	s_mov_b32 s2, 0x7a946abc
	s_mov_b32 s3, 0xbdb2fc95
	v_fma_f64 v[7:8], v[3:4], v[5:6], -v[7:8]
	v_add_f64 v[7:8], v[7:8], s[2:3]
	s_mov_b32 s2, 0xcc743c10
	s_mov_b32 s3, 0x3dda98be
	v_fma_f64 v[5:6], v[3:4], v[7:8], -v[5:6]
	v_add_f64 v[5:6], v[5:6], s[2:3]
	s_mov_b32 s2, 0x13ae9556
	s_mov_b32 s3, 0xbe01d4fe
	v_fma_f64 v[7:8], v[3:4], v[5:6], -v[7:8]
	v_add_f64 v[7:8], v[7:8], s[2:3]
	s_mov_b32 s2, 0xa454cb34
	s_mov_b32 s3, 0x3e26d903
	v_fma_f64 v[5:6], v[3:4], v[7:8], -v[5:6]
	v_add_f64 v[5:6], v[5:6], s[2:3]
	s_mov_b32 s2, 0x8c0b30ab
	s_mov_b32 s3, 0xbe4beaf6
	v_fma_f64 v[7:8], v[3:4], v[5:6], -v[7:8]
	v_add_f64 v[7:8], v[7:8], s[2:3]
	s_mov_b32 s2, 0x9d4d6435
	s_mov_b32 s3, 0x3e703b76
	v_fma_f64 v[5:6], v[3:4], v[7:8], -v[5:6]
	v_add_f64 v[5:6], v[5:6], s[2:3]
	s_mov_b32 s2, 0x8f227f8d
	s_mov_b32 s3, 0xbe91ec63
	v_fma_f64 v[7:8], v[3:4], v[5:6], -v[7:8]
	v_add_f64 v[7:8], v[7:8], s[2:3]
	s_mov_b32 s2, 0x978cf4ac
	s_mov_b32 s3, 0x3eb2bf24
	v_fma_f64 v[5:6], v[3:4], v[7:8], -v[5:6]
	v_add_f64 v[5:6], v[5:6], s[2:3]
	s_mov_b32 s2, 0xcba56427
	s_mov_b32 s3, 0xbed2866f
	v_fma_f64 v[7:8], v[3:4], v[5:6], -v[7:8]
	v_add_f64 v[7:8], v[7:8], s[2:3]
	s_mov_b32 s2, 0xbe9a2859
	s_mov_b32 s3, 0x3ef13f58
	v_fma_f64 v[5:6], v[3:4], v[7:8], -v[5:6]
	v_add_f64 v[5:6], v[5:6], s[2:3]
	s_mov_b32 s2, 0x59c41d5a
	s_mov_b32 s3, 0xbf0e2b26
	v_fma_f64 v[7:8], v[3:4], v[5:6], -v[7:8]
	v_add_f64 v[7:8], v[7:8], s[2:3]
	s_mov_b32 s2, 0x74107cab
	s_mov_b32 s3, 0x3f28b51b
	v_fma_f64 v[5:6], v[3:4], v[7:8], -v[5:6]
	v_add_f64 v[5:6], v[5:6], s[2:3]
	s_mov_b32 s2, 0x1f15eb52
	s_mov_b32 s3, 0xbf42e2fd
	v_fma_f64 v[7:8], v[3:4], v[5:6], -v[7:8]
	v_add_f64 v[7:8], v[7:8], s[2:3]
	s_mov_b32 s2, 0x8a12100e
	s_mov_b32 s3, 0x3f5adc75
	v_fma_f64 v[5:6], v[3:4], v[7:8], -v[5:6]
	v_add_f64 v[5:6], v[5:6], s[2:3]
	s_mov_b32 s2, 0x201aa849
	s_mov_b32 s3, 0xbf71b65e
	v_fma_f64 v[7:8], v[3:4], v[5:6], -v[7:8]
	v_add_f64 v[7:8], v[7:8], s[2:3]
	s_mov_b32 s2, 0x652b82fe
	s_mov_b32 s3, 0x3ff71547
	v_mul_f64 v[10:11], |v[1:2]|, s[2:3]
	s_mov_b32 s2, 0xf3dde3dd
	s_mov_b32 s3, 0x3f859961
	v_fma_f64 v[5:6], v[3:4], v[7:8], -v[5:6]
	v_rndne_f64_e32 v[10:11], v[10:11]
	v_add_f64 v[5:6], v[5:6], s[2:3]
	s_mov_b32 s2, 0xfefa39ef
	s_mov_b32 s3, 0xbfe62e42
	v_fma_f64 v[1:2], v[10:11], s[2:3], |v[1:2]|
	s_mov_b32 s2, 0xf121b6f0
	s_mov_b32 s3, 0xbf984e9e
	v_fma_f64 v[7:8], v[3:4], v[5:6], -v[7:8]
	v_fma_f64 v[1:2], v[10:11], s[4:5], v[1:2]
	s_mov_b32 s4, 0x623fde64
	s_mov_b32 s5, 0x3ec71dee
	v_add_f64 v[7:8], v[7:8], s[2:3]
	s_mov_b32 s2, 0x6a5dcb37
	s_mov_b32 s3, 0x3e5ade15
	v_fma_f64 v[12:13], v[1:2], s[2:3], v[12:13]
	s_mov_b32 s2, 0xcea8a32d
	s_mov_b32 s3, 0x3fa93e8a
	v_fma_f64 v[5:6], v[3:4], v[7:8], -v[5:6]
	v_fma_f64 v[12:13], v[1:2], v[12:13], s[4:5]
	s_mov_b32 s4, 0x14761f6e
	s_mov_b32 s5, 0x3f2a01a0
	v_add_f64 v[5:6], v[5:6], s[2:3]
	s_mov_b32 s2, 0x7c89e6b0
	s_mov_b32 s3, 0x3efa0199
	v_fma_f64 v[12:13], v[1:2], v[12:13], s[2:3]
	;; [unrolled: 10-line block ×4, first 2 shown]
	s_mov_b32 s2, 0xc057cd8d
	s_mov_b32 s3, 0xbfd37feb
	v_fma_f64 v[7:8], v[3:4], v[5:6], -v[7:8]
	v_fma_f64 v[12:13], v[1:2], v[12:13], s[4:5]
	v_add_f64 v[7:8], v[7:8], s[2:3]
	s_mov_b32 s2, 11
	s_mov_b32 s3, 0x3fe00000
	v_fma_f64 v[12:13], v[1:2], v[12:13], s[2:3]
	s_mov_b32 s2, 0x9035a22a
	s_mov_b32 s3, 0x3fe5a84e
	v_fma_f64 v[3:4], v[3:4], v[7:8], -v[5:6]
	v_fma_f64 v[7:8], v[1:2], v[12:13], 1.0
	v_add_f64 v[3:4], v[3:4], s[2:3]
	v_fma_f64 v[1:2], v[1:2], v[7:8], 1.0
	v_add_f64 v[3:4], v[3:4], -v[5:6]
	v_cvt_i32_f64_e32 v5, v[10:11]
	v_ldexp_f64 v[1:2], v[1:2], v5
	v_mul_f64 v[3:4], v[3:4], 0.5
	v_mul_f64 v[3:4], v[1:2], v[3:4]
                                        ; implicit-def: $vgpr1_vgpr2
.LBB7_100:
	s_andn2_saveexec_b64 s[2:3], s[0:1]
	s_cbranch_execz .LBB7_102
; %bb.101:
	s_mov_b32 s0, 0
	v_and_b32_e32 v4, 0x7fffffff, v2
	v_mov_b32_e32 v3, v1
	s_mov_b32 s1, 0x40400000
	v_div_scale_f64 v[5:6], s[4:5], v[3:4], v[3:4], s[0:1]
	v_div_scale_f64 v[3:4], vcc, s[0:1], v[3:4], s[0:1]
	s_mov_b32 s4, 0x3b39803f
	s_mov_b32 s5, 0xbc7abc9e
	v_mov_b32_e32 v14, 0xfca7ab0c
	v_mov_b32_e32 v15, 0x3e928af3
	s_mov_b32 s6, 0
	s_brev_b32 s7, 8
	v_mov_b32_e32 v16, 0x100
	v_rcp_f64_e32 v[7:8], v[5:6]
	v_fma_f64 v[10:11], -v[5:6], v[7:8], 1.0
	v_fma_f64 v[7:8], v[7:8], v[10:11], v[7:8]
	v_fma_f64 v[10:11], -v[5:6], v[7:8], 1.0
	v_fma_f64 v[7:8], v[7:8], v[10:11], v[7:8]
	v_mul_f64 v[10:11], v[3:4], v[7:8]
	v_fma_f64 v[3:4], -v[5:6], v[10:11], v[3:4]
	v_mov_b32_e32 v5, 0x66119130
	v_mov_b32_e32 v6, 0xbc5646da
	v_div_fmas_f64 v[3:4], v[3:4], v[7:8], v[10:11]
	v_cmp_lt_f64_e64 vcc, |v[1:2]|, s[6:7]
	v_cndmask_b32_e32 v16, 0, v16, vcc
	v_ldexp_f64 v[16:17], |v[1:2]|, v16
	v_div_fixup_f64 v[3:4], v[3:4], |v[1:2]|, s[0:1]
	s_mov_b32 s1, 0xbc60adb7
	s_mov_b32 s0, 0x54ca8b19
	v_rsq_f64_e32 v[18:19], v[16:17]
	v_add_f64 v[3:4], v[3:4], -2.0
	v_fma_f64 v[5:6], v[3:4], s[0:1], v[5:6]
	s_mov_b32 s1, 0x3c60adb7
	v_mul_f64 v[20:21], v[16:17], v[18:19]
	v_mul_f64 v[18:19], v[18:19], 0.5
	v_fma_f64 v[7:8], v[3:4], v[5:6], s[0:1]
	s_mov_b32 s0, 0x12d98421
	s_mov_b32 s1, 0x3c89be18
	v_fma_f64 v[22:23], -v[18:19], v[20:21], 0.5
	v_add_f64 v[7:8], v[7:8], s[0:1]
	s_mov_b32 s0, 0x76041cd
	s_mov_b32 s1, 0x3c83f3dd
	v_fma_f64 v[20:21], v[20:21], v[22:23], v[20:21]
	v_fma_f64 v[18:19], v[18:19], v[22:23], v[18:19]
	v_fma_f64 v[5:6], v[3:4], v[7:8], -v[5:6]
	v_fma_f64 v[22:23], -v[20:21], v[20:21], v[16:17]
	v_add_f64 v[5:6], v[5:6], s[0:1]
	s_mov_b32 s0, 0xabd21fe4
	s_mov_b32 s1, 0xbcb4600b
	v_fma_f64 v[7:8], v[3:4], v[5:6], -v[7:8]
	v_add_f64 v[7:8], v[7:8], s[0:1]
	s_mov_b32 s0, 0xd908de38
	s_mov_b32 s1, 0xbcb8aee7
	v_fma_f64 v[5:6], v[3:4], v[7:8], -v[5:6]
	;; [unrolled: 4-line block ×14, first 2 shown]
	v_add_f64 v[10:11], v[5:6], s[0:1]
	s_mov_b32 s0, 0x652b82fe
	s_mov_b32 s1, 0x3ff71547
	v_mul_f64 v[5:6], |v[1:2]|, s[0:1]
	s_mov_b32 s0, 0xa9225b87
	s_mov_b32 s1, 0x3e2d2c64
	v_fma_f64 v[7:8], v[3:4], v[10:11], -v[7:8]
	v_rndne_f64_e32 v[5:6], v[5:6]
	v_add_f64 v[12:13], v[7:8], s[0:1]
	s_mov_b32 s0, 0xfefa39ef
	s_mov_b32 s1, 0xbfe62e42
	v_fma_f64 v[7:8], v[5:6], s[0:1], |v[1:2]|
	s_mov_b32 s0, 0x80d6d56d
	s_mov_b32 s1, 0x3e585692
	v_fma_f64 v[10:11], v[3:4], v[12:13], -v[10:11]
	v_fma_f64 v[7:8], v[5:6], s[4:5], v[7:8]
	s_mov_b32 s4, 0x623fde64
	s_mov_b32 s5, 0x3ec71dee
	v_add_f64 v[10:11], v[10:11], s[0:1]
	s_mov_b32 s0, 0x6a5dcb37
	s_mov_b32 s1, 0x3e5ade15
	v_fma_f64 v[14:15], v[7:8], s[0:1], v[14:15]
	s_mov_b32 s0, 0xd9cd616e
	s_mov_b32 s1, 0x3e8b8007
	v_fma_f64 v[12:13], v[3:4], v[10:11], -v[12:13]
	v_fma_f64 v[14:15], v[7:8], v[14:15], s[4:5]
	s_mov_b32 s4, 0x14761f6e
	s_mov_b32 s5, 0x3f2a01a0
	v_add_f64 v[12:13], v[12:13], s[0:1]
	s_mov_b32 s0, 0x7c89e6b0
	s_mov_b32 s1, 0x3efa0199
	v_fma_f64 v[14:15], v[7:8], v[14:15], s[0:1]
	s_mov_b32 s0, 0xc101c586
	s_mov_b32 s1, 0x3ec8412b
	v_fma_f64 v[10:11], v[3:4], v[12:13], -v[10:11]
	v_fma_f64 v[14:15], v[7:8], v[14:15], s[4:5]
	s_mov_b32 s4, 0x11122322
	s_mov_b32 s5, 0x3f811111
	v_add_f64 v[10:11], v[10:11], s[0:1]
	s_mov_b32 s0, 0x1852b7b0
	s_mov_b32 s1, 0x3f56c16c
	v_fma_f64 v[14:15], v[7:8], v[14:15], s[0:1]
	s_mov_b32 s0, 0x78999e52
	s_mov_b32 s1, 0x3f120fa3
	v_fma_f64 v[12:13], v[3:4], v[10:11], -v[12:13]
	v_fma_f64 v[14:15], v[7:8], v[14:15], s[4:5]
	s_mov_b32 s4, 0x55555511
	s_mov_b32 s5, 0x3fc55555
	v_add_f64 v[12:13], v[12:13], s[0:1]
	s_mov_b32 s0, 0x555502a1
	s_mov_b32 s1, 0x3fa55555
	v_fma_f64 v[14:15], v[7:8], v[14:15], s[0:1]
	s_mov_b32 s0, 0xa2e59049
	s_mov_b32 s1, 0x3f6b998c
	v_fma_f64 v[10:11], v[3:4], v[12:13], -v[10:11]
	v_fma_f64 v[14:15], v[7:8], v[14:15], s[4:5]
	v_add_f64 v[10:11], v[10:11], s[0:1]
	s_mov_b32 s0, 11
	s_mov_b32 s1, 0x3fe00000
	v_fma_f64 v[14:15], v[7:8], v[14:15], s[0:1]
	s_mov_b32 s0, 0xaca809cb
	s_mov_b32 s1, 0x3fe9be62
	v_fma_f64 v[3:4], v[3:4], v[10:11], -v[12:13]
	v_fma_f64 v[10:11], v[22:23], v[18:19], v[20:21]
	v_fma_f64 v[14:15], v[7:8], v[14:15], 1.0
	v_add_f64 v[3:4], v[3:4], s[0:1]
	v_fma_f64 v[20:21], -v[10:11], v[10:11], v[16:17]
	s_mov_b32 s0, 0
	v_fma_f64 v[7:8], v[7:8], v[14:15], 1.0
	s_mov_b32 s1, 0x40900000
	v_cmp_ngt_f64_e64 s[0:1], |v[1:2]|, s[0:1]
	v_add_f64 v[3:4], v[3:4], -v[12:13]
	v_cvt_i32_f64_e32 v12, v[5:6]
	v_fma_f64 v[5:6], v[20:21], v[18:19], v[10:11]
	v_mov_b32_e32 v10, 0x7ff00000
	v_mov_b32_e32 v11, 0x260
	v_ldexp_f64 v[7:8], v[7:8], v12
	v_mul_f64 v[1:2], v[3:4], 0.5
	v_mov_b32_e32 v3, 0xffffff80
	v_cndmask_b32_e32 v3, 0, v3, vcc
	v_ldexp_f64 v[3:4], v[5:6], v3
	v_cmp_class_f64_e32 vcc, v[16:17], v11
	v_cndmask_b32_e64 v6, v10, v8, s[0:1]
	v_cndmask_b32_e64 v5, 0, v7, s[0:1]
	v_mul_f64 v[1:2], v[5:6], v[1:2]
	v_cndmask_b32_e32 v4, v4, v17, vcc
	v_cndmask_b32_e32 v3, v3, v16, vcc
	v_div_scale_f64 v[5:6], s[0:1], v[3:4], v[3:4], v[1:2]
	v_div_scale_f64 v[12:13], vcc, v[1:2], v[3:4], v[1:2]
	v_rcp_f64_e32 v[7:8], v[5:6]
	v_fma_f64 v[10:11], -v[5:6], v[7:8], 1.0
	v_fma_f64 v[7:8], v[7:8], v[10:11], v[7:8]
	v_fma_f64 v[10:11], -v[5:6], v[7:8], 1.0
	v_fma_f64 v[7:8], v[7:8], v[10:11], v[7:8]
	v_mul_f64 v[10:11], v[12:13], v[7:8]
	v_fma_f64 v[5:6], -v[5:6], v[10:11], v[12:13]
	v_div_fmas_f64 v[5:6], v[5:6], v[7:8], v[10:11]
	v_div_fixup_f64 v[3:4], v[5:6], v[3:4], v[1:2]
.LBB7_102:
	s_or_b64 exec, exec, s[2:3]
	v_add_u32_e32 v9, 0x80, v9
	global_store_dwordx2 v0, v[3:4], s[16:17]
	s_or_b64 exec, exec, s[48:49]
	v_cmp_gt_i32_e32 vcc, s55, v9
	s_and_saveexec_b64 s[48:49], vcc
	s_cbranch_execnz .LBB7_15
.LBB7_103:
	s_or_b64 exec, exec, s[48:49]
	v_cmp_gt_i32_e32 vcc, s55, v9
	s_and_saveexec_b64 s[48:49], vcc
	s_cbranch_execz .LBB7_123
.LBB7_104:
	s_andn2_b64 vcc, exec, s[36:37]
	s_cbranch_vccnz .LBB7_109
; %bb.105:
	s_andn2_b64 vcc, exec, s[46:47]
	s_cbranch_vccnz .LBB7_110
; %bb.106:
	s_add_i32 s58, s56, 1
	s_cmp_eq_u32 s54, 2
	s_cbranch_scc1 .LBB7_126
; %bb.107:
	s_and_b32 s57, s58, 28
	v_mov_b32_e32 v2, 0
	s_mov_b32 s59, 0
	s_mov_b64 s[50:51], s[34:35]
	s_mov_b64 s[52:53], s[44:45]
	v_mov_b32_e32 v0, 0
	v_mov_b32_e32 v1, v9
.LBB7_108:                              ; =>This Inner Loop Header: Depth=1
	s_load_dwordx8 s[8:15], s[50:51], 0x4
	s_load_dwordx4 s[28:31], s[50:51], 0x24
	s_load_dwordx8 s[0:7], s[52:53], 0x0
	s_add_u32 s50, s50, 48
	s_addc_u32 s51, s51, 0
	s_waitcnt lgkmcnt(0)
	v_mul_hi_u32 v3, s9, v1
	s_add_i32 s59, s59, 4
	s_add_u32 s52, s52, 32
	s_addc_u32 s53, s53, 0
	v_add_u32_e32 v3, v1, v3
	v_lshrrev_b32_e32 v3, s10, v3
	v_mul_lo_u32 v4, v3, s8
	v_mul_hi_u32 v5, s12, v3
	s_cmp_eq_u32 s57, s59
	v_sub_u32_e32 v1, v1, v4
	v_add_u32_e32 v4, v3, v5
	v_mul_lo_u32 v5, v1, s0
	v_mul_lo_u32 v6, v1, s1
	v_lshrrev_b32_e32 v1, s13, v4
	v_mul_lo_u32 v4, v1, s11
	v_mul_hi_u32 v7, s15, v1
	v_sub_u32_e32 v3, v3, v4
	v_add_u32_e32 v4, v1, v7
	v_lshrrev_b32_e32 v4, s28, v4
	v_mul_hi_u32 v8, s30, v4
	v_mul_lo_u32 v10, v4, s14
	v_mul_lo_u32 v7, v3, s2
	;; [unrolled: 1-line block ×3, first 2 shown]
	v_sub_u32_e32 v10, v1, v10
	v_add_u32_e32 v1, v4, v8
	v_lshrrev_b32_e32 v1, s31, v1
	v_mul_lo_u32 v8, v1, s29
	v_mul_lo_u32 v11, v10, s4
	;; [unrolled: 1-line block ×3, first 2 shown]
	v_add3_u32 v0, v5, v0, v7
	v_sub_u32_e32 v4, v4, v8
	v_mul_lo_u32 v8, v4, s6
	v_mul_lo_u32 v4, v4, s7
	v_add3_u32 v2, v6, v2, v3
	v_add3_u32 v0, v11, v0, v8
	;; [unrolled: 1-line block ×3, first 2 shown]
	s_cbranch_scc0 .LBB7_108
	s_branch .LBB7_127
.LBB7_109:
                                        ; implicit-def: $vgpr0
                                        ; implicit-def: $vgpr2
	s_branch .LBB7_131
.LBB7_110:
	v_mov_b32_e32 v0, 0
	v_mov_b32_e32 v2, 0
	s_branch .LBB7_130
.LBB7_111:
	s_mov_b32 s57, 0
	v_mov_b32_e32 v0, 0
	v_mov_b32_e32 v2, 0
	;; [unrolled: 1-line block ×3, first 2 shown]
.LBB7_112:
	s_and_b32 s4, s58, 3
	s_cmp_eq_u32 s4, 0
	s_cbranch_scc1 .LBB7_115
; %bb.113:
	s_lshl_b32 s0, s57, 3
	s_add_u32 s0, s34, s0
	s_addc_u32 s1, s35, 0
	s_add_u32 s0, s0, 0xc4
	s_addc_u32 s1, s1, 0
	s_mul_i32 s2, s57, 12
	s_add_u32 s2, s34, s2
	s_addc_u32 s3, s35, 0
.LBB7_114:                              ; =>This Inner Loop Header: Depth=1
	s_load_dwordx2 s[6:7], s[2:3], 0x4
	s_load_dword s5, s[2:3], 0xc
	s_load_dwordx2 s[8:9], s[0:1], 0x0
	s_add_u32 s2, s2, 12
	s_addc_u32 s3, s3, 0
	s_waitcnt lgkmcnt(0)
	v_mul_hi_u32 v3, s7, v1
	s_add_u32 s0, s0, 8
	s_addc_u32 s1, s1, 0
	s_add_i32 s4, s4, -1
	v_add_u32_e32 v3, v1, v3
	v_lshrrev_b32_e32 v4, s5, v3
	v_mul_lo_u32 v3, v4, s6
	s_cmp_lg_u32 s4, 0
	v_sub_u32_e32 v3, v1, v3
	v_mad_u64_u32 v[0:1], s[6:7], v3, s8, v[0:1]
	v_mad_u64_u32 v[2:3], s[6:7], v3, s9, v[2:3]
	v_mov_b32_e32 v1, v4
	s_cbranch_scc1 .LBB7_114
.LBB7_115:
	s_cbranch_execnz .LBB7_118
.LBB7_116:
	s_waitcnt lgkmcnt(0)
	v_mul_hi_u32 v0, s25, v9
	s_andn2_b64 vcc, exec, s[42:43]
	v_add_u32_e32 v0, v9, v0
	v_lshrrev_b32_e32 v1, s26, v0
	v_mul_lo_u32 v0, v1, s24
	v_sub_u32_e32 v2, v9, v0
	v_mul_lo_u32 v0, v2, s20
	v_mul_lo_u32 v2, v2, s21
	s_cbranch_vccnz .LBB7_118
; %bb.117:
	v_mul_hi_u32 v3, s40, v1
	v_add_u32_e32 v3, v1, v3
	v_lshrrev_b32_e32 v3, s41, v3
	v_mul_lo_u32 v3, v3, s27
	v_sub_u32_e32 v3, v1, v3
	v_mad_u64_u32 v[0:1], s[0:1], v3, s22, v[0:1]
	v_mad_u64_u32 v[2:3], s[0:1], v3, s23, v[2:3]
.LBB7_118:
	s_waitcnt lgkmcnt(0)
	global_load_dwordx2 v[1:2], v2, s[18:19]
	s_mov_b32 s0, 0
	s_mov_b32 s1, 0x40200000
                                        ; implicit-def: $vgpr3_vgpr4
	s_waitcnt vmcnt(0)
	v_cmp_le_f64_e64 s[0:1], |v[1:2]|, s[0:1]
	s_and_saveexec_b64 s[2:3], s[0:1]
	s_xor_b64 s[0:1], exec, s[2:3]
	s_cbranch_execz .LBB7_120
; %bb.119:
	v_fma_f64 v[3:4], |v[1:2]|, 0.5, -2.0
	v_mov_b32_e32 v5, 0x977da589
	v_mov_b32_e32 v6, 0x3c833362
	s_mov_b32 s3, 0xbc545cb7
	s_mov_b32 s2, 0x2134d0ef
	;; [unrolled: 1-line block ×4, first 2 shown]
	v_mov_b32_e32 v12, 0xfca7ab0c
	v_fma_f64 v[5:6], v[3:4], s[2:3], v[5:6]
	s_mov_b32 s3, 0x3c545cb7
	v_mov_b32_e32 v13, 0x3e928af3
	v_fma_f64 v[7:8], v[3:4], v[5:6], s[2:3]
	s_mov_b32 s2, 0x721ebbb4
	s_mov_b32 s3, 0xbcb184eb
	v_add_f64 v[7:8], v[7:8], s[2:3]
	s_mov_b32 s2, 0x93f65eba
	s_mov_b32 s3, 0x3cdee6d8
	v_fma_f64 v[5:6], v[3:4], v[7:8], -v[5:6]
	v_add_f64 v[5:6], v[5:6], s[2:3]
	s_mov_b32 s2, 0xc297fbeb
	s_mov_b32 s3, 0xbd0a5022
	v_fma_f64 v[7:8], v[3:4], v[5:6], -v[7:8]
	;; [unrolled: 4-line block ×20, first 2 shown]
	v_add_f64 v[7:8], v[7:8], s[2:3]
	s_mov_b32 s2, 0x652b82fe
	s_mov_b32 s3, 0x3ff71547
	v_mul_f64 v[10:11], |v[1:2]|, s[2:3]
	s_mov_b32 s2, 0xf3dde3dd
	s_mov_b32 s3, 0x3f859961
	v_fma_f64 v[5:6], v[3:4], v[7:8], -v[5:6]
	v_rndne_f64_e32 v[10:11], v[10:11]
	v_add_f64 v[5:6], v[5:6], s[2:3]
	s_mov_b32 s2, 0xfefa39ef
	s_mov_b32 s3, 0xbfe62e42
	v_fma_f64 v[1:2], v[10:11], s[2:3], |v[1:2]|
	s_mov_b32 s2, 0xf121b6f0
	s_mov_b32 s3, 0xbf984e9e
	v_fma_f64 v[7:8], v[3:4], v[5:6], -v[7:8]
	v_fma_f64 v[1:2], v[10:11], s[4:5], v[1:2]
	s_mov_b32 s4, 0x623fde64
	s_mov_b32 s5, 0x3ec71dee
	v_add_f64 v[7:8], v[7:8], s[2:3]
	s_mov_b32 s2, 0x6a5dcb37
	s_mov_b32 s3, 0x3e5ade15
	v_fma_f64 v[12:13], v[1:2], s[2:3], v[12:13]
	s_mov_b32 s2, 0xcea8a32d
	s_mov_b32 s3, 0x3fa93e8a
	v_fma_f64 v[5:6], v[3:4], v[7:8], -v[5:6]
	v_fma_f64 v[12:13], v[1:2], v[12:13], s[4:5]
	s_mov_b32 s4, 0x14761f6e
	s_mov_b32 s5, 0x3f2a01a0
	v_add_f64 v[5:6], v[5:6], s[2:3]
	s_mov_b32 s2, 0x7c89e6b0
	s_mov_b32 s3, 0x3efa0199
	v_fma_f64 v[12:13], v[1:2], v[12:13], s[2:3]
	;; [unrolled: 10-line block ×4, first 2 shown]
	s_mov_b32 s2, 0xc057cd8d
	s_mov_b32 s3, 0xbfd37feb
	v_fma_f64 v[7:8], v[3:4], v[5:6], -v[7:8]
	v_fma_f64 v[12:13], v[1:2], v[12:13], s[4:5]
	v_add_f64 v[7:8], v[7:8], s[2:3]
	s_mov_b32 s2, 11
	s_mov_b32 s3, 0x3fe00000
	v_fma_f64 v[12:13], v[1:2], v[12:13], s[2:3]
	s_mov_b32 s2, 0x9035a22a
	s_mov_b32 s3, 0x3fe5a84e
	v_fma_f64 v[3:4], v[3:4], v[7:8], -v[5:6]
	v_fma_f64 v[7:8], v[1:2], v[12:13], 1.0
	v_add_f64 v[3:4], v[3:4], s[2:3]
	v_fma_f64 v[1:2], v[1:2], v[7:8], 1.0
	v_add_f64 v[3:4], v[3:4], -v[5:6]
	v_cvt_i32_f64_e32 v5, v[10:11]
	v_ldexp_f64 v[1:2], v[1:2], v5
	v_mul_f64 v[3:4], v[3:4], 0.5
	v_mul_f64 v[3:4], v[1:2], v[3:4]
                                        ; implicit-def: $vgpr1_vgpr2
.LBB7_120:
	s_andn2_saveexec_b64 s[2:3], s[0:1]
	s_cbranch_execz .LBB7_122
; %bb.121:
	s_mov_b32 s0, 0
	v_and_b32_e32 v4, 0x7fffffff, v2
	v_mov_b32_e32 v3, v1
	s_mov_b32 s1, 0x40400000
	v_div_scale_f64 v[5:6], s[4:5], v[3:4], v[3:4], s[0:1]
	v_div_scale_f64 v[3:4], vcc, s[0:1], v[3:4], s[0:1]
	s_mov_b32 s4, 0x3b39803f
	s_mov_b32 s5, 0xbc7abc9e
	v_mov_b32_e32 v14, 0xfca7ab0c
	v_mov_b32_e32 v15, 0x3e928af3
	s_mov_b32 s6, 0
	s_brev_b32 s7, 8
	v_mov_b32_e32 v16, 0x100
	v_rcp_f64_e32 v[7:8], v[5:6]
	v_fma_f64 v[10:11], -v[5:6], v[7:8], 1.0
	v_fma_f64 v[7:8], v[7:8], v[10:11], v[7:8]
	v_fma_f64 v[10:11], -v[5:6], v[7:8], 1.0
	v_fma_f64 v[7:8], v[7:8], v[10:11], v[7:8]
	v_mul_f64 v[10:11], v[3:4], v[7:8]
	v_fma_f64 v[3:4], -v[5:6], v[10:11], v[3:4]
	v_mov_b32_e32 v5, 0x66119130
	v_mov_b32_e32 v6, 0xbc5646da
	v_div_fmas_f64 v[3:4], v[3:4], v[7:8], v[10:11]
	v_cmp_lt_f64_e64 vcc, |v[1:2]|, s[6:7]
	v_cndmask_b32_e32 v16, 0, v16, vcc
	v_ldexp_f64 v[16:17], |v[1:2]|, v16
	v_div_fixup_f64 v[3:4], v[3:4], |v[1:2]|, s[0:1]
	s_mov_b32 s1, 0xbc60adb7
	s_mov_b32 s0, 0x54ca8b19
	v_rsq_f64_e32 v[18:19], v[16:17]
	v_add_f64 v[3:4], v[3:4], -2.0
	v_fma_f64 v[5:6], v[3:4], s[0:1], v[5:6]
	s_mov_b32 s1, 0x3c60adb7
	v_mul_f64 v[20:21], v[16:17], v[18:19]
	v_mul_f64 v[18:19], v[18:19], 0.5
	v_fma_f64 v[7:8], v[3:4], v[5:6], s[0:1]
	s_mov_b32 s0, 0x12d98421
	s_mov_b32 s1, 0x3c89be18
	v_fma_f64 v[22:23], -v[18:19], v[20:21], 0.5
	v_add_f64 v[7:8], v[7:8], s[0:1]
	s_mov_b32 s0, 0x76041cd
	s_mov_b32 s1, 0x3c83f3dd
	v_fma_f64 v[20:21], v[20:21], v[22:23], v[20:21]
	v_fma_f64 v[18:19], v[18:19], v[22:23], v[18:19]
	v_fma_f64 v[5:6], v[3:4], v[7:8], -v[5:6]
	v_fma_f64 v[22:23], -v[20:21], v[20:21], v[16:17]
	v_add_f64 v[5:6], v[5:6], s[0:1]
	s_mov_b32 s0, 0xabd21fe4
	s_mov_b32 s1, 0xbcb4600b
	v_fma_f64 v[7:8], v[3:4], v[5:6], -v[7:8]
	v_add_f64 v[7:8], v[7:8], s[0:1]
	s_mov_b32 s0, 0xd908de38
	s_mov_b32 s1, 0xbcb8aee7
	v_fma_f64 v[5:6], v[3:4], v[7:8], -v[5:6]
	;; [unrolled: 4-line block ×14, first 2 shown]
	v_add_f64 v[10:11], v[5:6], s[0:1]
	s_mov_b32 s0, 0x652b82fe
	s_mov_b32 s1, 0x3ff71547
	v_mul_f64 v[5:6], |v[1:2]|, s[0:1]
	s_mov_b32 s0, 0xa9225b87
	s_mov_b32 s1, 0x3e2d2c64
	v_fma_f64 v[7:8], v[3:4], v[10:11], -v[7:8]
	v_rndne_f64_e32 v[5:6], v[5:6]
	v_add_f64 v[12:13], v[7:8], s[0:1]
	s_mov_b32 s0, 0xfefa39ef
	s_mov_b32 s1, 0xbfe62e42
	v_fma_f64 v[7:8], v[5:6], s[0:1], |v[1:2]|
	s_mov_b32 s0, 0x80d6d56d
	s_mov_b32 s1, 0x3e585692
	v_fma_f64 v[10:11], v[3:4], v[12:13], -v[10:11]
	v_fma_f64 v[7:8], v[5:6], s[4:5], v[7:8]
	s_mov_b32 s4, 0x623fde64
	s_mov_b32 s5, 0x3ec71dee
	v_add_f64 v[10:11], v[10:11], s[0:1]
	s_mov_b32 s0, 0x6a5dcb37
	s_mov_b32 s1, 0x3e5ade15
	v_fma_f64 v[14:15], v[7:8], s[0:1], v[14:15]
	s_mov_b32 s0, 0xd9cd616e
	s_mov_b32 s1, 0x3e8b8007
	v_fma_f64 v[12:13], v[3:4], v[10:11], -v[12:13]
	v_fma_f64 v[14:15], v[7:8], v[14:15], s[4:5]
	s_mov_b32 s4, 0x14761f6e
	s_mov_b32 s5, 0x3f2a01a0
	v_add_f64 v[12:13], v[12:13], s[0:1]
	s_mov_b32 s0, 0x7c89e6b0
	s_mov_b32 s1, 0x3efa0199
	v_fma_f64 v[14:15], v[7:8], v[14:15], s[0:1]
	;; [unrolled: 10-line block ×4, first 2 shown]
	s_mov_b32 s0, 0xa2e59049
	s_mov_b32 s1, 0x3f6b998c
	v_fma_f64 v[10:11], v[3:4], v[12:13], -v[10:11]
	v_fma_f64 v[14:15], v[7:8], v[14:15], s[4:5]
	v_add_f64 v[10:11], v[10:11], s[0:1]
	s_mov_b32 s0, 11
	s_mov_b32 s1, 0x3fe00000
	v_fma_f64 v[14:15], v[7:8], v[14:15], s[0:1]
	s_mov_b32 s0, 0xaca809cb
	s_mov_b32 s1, 0x3fe9be62
	v_fma_f64 v[3:4], v[3:4], v[10:11], -v[12:13]
	v_fma_f64 v[10:11], v[22:23], v[18:19], v[20:21]
	v_fma_f64 v[14:15], v[7:8], v[14:15], 1.0
	v_add_f64 v[3:4], v[3:4], s[0:1]
	v_fma_f64 v[20:21], -v[10:11], v[10:11], v[16:17]
	s_mov_b32 s0, 0
	v_fma_f64 v[7:8], v[7:8], v[14:15], 1.0
	s_mov_b32 s1, 0x40900000
	v_cmp_ngt_f64_e64 s[0:1], |v[1:2]|, s[0:1]
	v_add_f64 v[3:4], v[3:4], -v[12:13]
	v_cvt_i32_f64_e32 v12, v[5:6]
	v_fma_f64 v[5:6], v[20:21], v[18:19], v[10:11]
	v_mov_b32_e32 v10, 0x7ff00000
	v_mov_b32_e32 v11, 0x260
	v_ldexp_f64 v[7:8], v[7:8], v12
	v_mul_f64 v[1:2], v[3:4], 0.5
	v_mov_b32_e32 v3, 0xffffff80
	v_cndmask_b32_e32 v3, 0, v3, vcc
	v_ldexp_f64 v[3:4], v[5:6], v3
	v_cmp_class_f64_e32 vcc, v[16:17], v11
	v_cndmask_b32_e64 v6, v10, v8, s[0:1]
	v_cndmask_b32_e64 v5, 0, v7, s[0:1]
	v_mul_f64 v[1:2], v[5:6], v[1:2]
	v_cndmask_b32_e32 v4, v4, v17, vcc
	v_cndmask_b32_e32 v3, v3, v16, vcc
	v_div_scale_f64 v[5:6], s[0:1], v[3:4], v[3:4], v[1:2]
	v_div_scale_f64 v[12:13], vcc, v[1:2], v[3:4], v[1:2]
	v_rcp_f64_e32 v[7:8], v[5:6]
	v_fma_f64 v[10:11], -v[5:6], v[7:8], 1.0
	v_fma_f64 v[7:8], v[7:8], v[10:11], v[7:8]
	v_fma_f64 v[10:11], -v[5:6], v[7:8], 1.0
	v_fma_f64 v[7:8], v[7:8], v[10:11], v[7:8]
	v_mul_f64 v[10:11], v[12:13], v[7:8]
	v_fma_f64 v[5:6], -v[5:6], v[10:11], v[12:13]
	v_div_fmas_f64 v[5:6], v[5:6], v[7:8], v[10:11]
	v_div_fixup_f64 v[3:4], v[5:6], v[3:4], v[1:2]
.LBB7_122:
	s_or_b64 exec, exec, s[2:3]
	v_add_u32_e32 v9, 0x80, v9
	global_store_dwordx2 v0, v[3:4], s[16:17]
	s_or_b64 exec, exec, s[48:49]
	v_cmp_gt_i32_e32 vcc, s55, v9
	s_and_saveexec_b64 s[48:49], vcc
	s_cbranch_execnz .LBB7_104
.LBB7_123:
	s_or_b64 exec, exec, s[48:49]
	v_cmp_gt_i32_e32 vcc, s55, v9
	s_and_saveexec_b64 s[48:49], vcc
	s_cbranch_execnz .LBB7_138
.LBB7_124:
	s_or_b64 exec, exec, s[48:49]
                                        ; implicit-def: $vgpr12
                                        ; implicit-def: $vgpr9
	s_andn2_saveexec_b64 s[0:1], s[38:39]
	s_cbranch_execnz .LBB7_8
.LBB7_125:
	s_endpgm
.LBB7_126:
	s_mov_b32 s57, 0
	v_mov_b32_e32 v0, 0
	v_mov_b32_e32 v2, 0
	v_mov_b32_e32 v1, v9
.LBB7_127:
	s_and_b32 s4, s58, 3
	s_cmp_eq_u32 s4, 0
	s_cbranch_scc1 .LBB7_130
; %bb.128:
	s_lshl_b32 s0, s57, 3
	s_add_u32 s0, s34, s0
	s_addc_u32 s1, s35, 0
	s_add_u32 s0, s0, 0xc4
	s_addc_u32 s1, s1, 0
	s_mul_i32 s2, s57, 12
	s_add_u32 s2, s34, s2
	s_addc_u32 s3, s35, 0
.LBB7_129:                              ; =>This Inner Loop Header: Depth=1
	s_load_dwordx2 s[6:7], s[2:3], 0x4
	s_load_dword s5, s[2:3], 0xc
	s_load_dwordx2 s[8:9], s[0:1], 0x0
	s_add_u32 s2, s2, 12
	s_addc_u32 s3, s3, 0
	s_waitcnt lgkmcnt(0)
	v_mul_hi_u32 v3, s7, v1
	s_add_u32 s0, s0, 8
	s_addc_u32 s1, s1, 0
	s_add_i32 s4, s4, -1
	v_add_u32_e32 v3, v1, v3
	v_lshrrev_b32_e32 v4, s5, v3
	v_mul_lo_u32 v3, v4, s6
	s_cmp_lg_u32 s4, 0
	v_sub_u32_e32 v3, v1, v3
	v_mad_u64_u32 v[0:1], s[6:7], v3, s8, v[0:1]
	v_mad_u64_u32 v[2:3], s[6:7], v3, s9, v[2:3]
	v_mov_b32_e32 v1, v4
	s_cbranch_scc1 .LBB7_129
.LBB7_130:
	s_cbranch_execnz .LBB7_133
.LBB7_131:
	s_waitcnt lgkmcnt(0)
	v_mul_hi_u32 v0, s25, v9
	s_andn2_b64 vcc, exec, s[42:43]
	v_add_u32_e32 v0, v9, v0
	v_lshrrev_b32_e32 v1, s26, v0
	v_mul_lo_u32 v0, v1, s24
	v_sub_u32_e32 v2, v9, v0
	v_mul_lo_u32 v0, v2, s20
	v_mul_lo_u32 v2, v2, s21
	s_cbranch_vccnz .LBB7_133
; %bb.132:
	v_mul_hi_u32 v3, s40, v1
	v_add_u32_e32 v3, v1, v3
	v_lshrrev_b32_e32 v3, s41, v3
	v_mul_lo_u32 v3, v3, s27
	v_sub_u32_e32 v3, v1, v3
	v_mad_u64_u32 v[0:1], s[0:1], v3, s22, v[0:1]
	v_mad_u64_u32 v[2:3], s[0:1], v3, s23, v[2:3]
.LBB7_133:
	s_waitcnt lgkmcnt(0)
	global_load_dwordx2 v[1:2], v2, s[18:19]
	s_mov_b32 s0, 0
	s_mov_b32 s1, 0x40200000
                                        ; implicit-def: $vgpr3_vgpr4
	s_waitcnt vmcnt(0)
	v_cmp_le_f64_e64 s[0:1], |v[1:2]|, s[0:1]
	s_and_saveexec_b64 s[2:3], s[0:1]
	s_xor_b64 s[0:1], exec, s[2:3]
	s_cbranch_execz .LBB7_135
; %bb.134:
	v_fma_f64 v[3:4], |v[1:2]|, 0.5, -2.0
	v_mov_b32_e32 v5, 0x977da589
	v_mov_b32_e32 v6, 0x3c833362
	s_mov_b32 s3, 0xbc545cb7
	s_mov_b32 s2, 0x2134d0ef
	;; [unrolled: 1-line block ×4, first 2 shown]
	v_mov_b32_e32 v12, 0xfca7ab0c
	v_fma_f64 v[5:6], v[3:4], s[2:3], v[5:6]
	s_mov_b32 s3, 0x3c545cb7
	v_mov_b32_e32 v13, 0x3e928af3
	v_fma_f64 v[7:8], v[3:4], v[5:6], s[2:3]
	s_mov_b32 s2, 0x721ebbb4
	s_mov_b32 s3, 0xbcb184eb
	v_add_f64 v[7:8], v[7:8], s[2:3]
	s_mov_b32 s2, 0x93f65eba
	s_mov_b32 s3, 0x3cdee6d8
	v_fma_f64 v[5:6], v[3:4], v[7:8], -v[5:6]
	v_add_f64 v[5:6], v[5:6], s[2:3]
	s_mov_b32 s2, 0xc297fbeb
	s_mov_b32 s3, 0xbd0a5022
	v_fma_f64 v[7:8], v[3:4], v[5:6], -v[7:8]
	;; [unrolled: 4-line block ×20, first 2 shown]
	v_add_f64 v[7:8], v[7:8], s[2:3]
	s_mov_b32 s2, 0x652b82fe
	s_mov_b32 s3, 0x3ff71547
	v_mul_f64 v[10:11], |v[1:2]|, s[2:3]
	s_mov_b32 s2, 0xf3dde3dd
	s_mov_b32 s3, 0x3f859961
	v_fma_f64 v[5:6], v[3:4], v[7:8], -v[5:6]
	v_rndne_f64_e32 v[10:11], v[10:11]
	v_add_f64 v[5:6], v[5:6], s[2:3]
	s_mov_b32 s2, 0xfefa39ef
	s_mov_b32 s3, 0xbfe62e42
	v_fma_f64 v[1:2], v[10:11], s[2:3], |v[1:2]|
	s_mov_b32 s2, 0xf121b6f0
	s_mov_b32 s3, 0xbf984e9e
	v_fma_f64 v[7:8], v[3:4], v[5:6], -v[7:8]
	v_fma_f64 v[1:2], v[10:11], s[4:5], v[1:2]
	s_mov_b32 s4, 0x623fde64
	s_mov_b32 s5, 0x3ec71dee
	v_add_f64 v[7:8], v[7:8], s[2:3]
	s_mov_b32 s2, 0x6a5dcb37
	s_mov_b32 s3, 0x3e5ade15
	v_fma_f64 v[12:13], v[1:2], s[2:3], v[12:13]
	s_mov_b32 s2, 0xcea8a32d
	s_mov_b32 s3, 0x3fa93e8a
	v_fma_f64 v[5:6], v[3:4], v[7:8], -v[5:6]
	v_fma_f64 v[12:13], v[1:2], v[12:13], s[4:5]
	s_mov_b32 s4, 0x14761f6e
	s_mov_b32 s5, 0x3f2a01a0
	v_add_f64 v[5:6], v[5:6], s[2:3]
	s_mov_b32 s2, 0x7c89e6b0
	s_mov_b32 s3, 0x3efa0199
	v_fma_f64 v[12:13], v[1:2], v[12:13], s[2:3]
	;; [unrolled: 10-line block ×4, first 2 shown]
	s_mov_b32 s2, 0xc057cd8d
	s_mov_b32 s3, 0xbfd37feb
	v_fma_f64 v[7:8], v[3:4], v[5:6], -v[7:8]
	v_fma_f64 v[12:13], v[1:2], v[12:13], s[4:5]
	v_add_f64 v[7:8], v[7:8], s[2:3]
	s_mov_b32 s2, 11
	s_mov_b32 s3, 0x3fe00000
	v_fma_f64 v[12:13], v[1:2], v[12:13], s[2:3]
	s_mov_b32 s2, 0x9035a22a
	s_mov_b32 s3, 0x3fe5a84e
	v_fma_f64 v[3:4], v[3:4], v[7:8], -v[5:6]
	v_fma_f64 v[7:8], v[1:2], v[12:13], 1.0
	v_add_f64 v[3:4], v[3:4], s[2:3]
	v_fma_f64 v[1:2], v[1:2], v[7:8], 1.0
	v_add_f64 v[3:4], v[3:4], -v[5:6]
	v_cvt_i32_f64_e32 v5, v[10:11]
	v_ldexp_f64 v[1:2], v[1:2], v5
	v_mul_f64 v[3:4], v[3:4], 0.5
	v_mul_f64 v[3:4], v[1:2], v[3:4]
                                        ; implicit-def: $vgpr1_vgpr2
.LBB7_135:
	s_andn2_saveexec_b64 s[2:3], s[0:1]
	s_cbranch_execz .LBB7_137
; %bb.136:
	s_mov_b32 s0, 0
	v_and_b32_e32 v4, 0x7fffffff, v2
	v_mov_b32_e32 v3, v1
	s_mov_b32 s1, 0x40400000
	v_div_scale_f64 v[5:6], s[4:5], v[3:4], v[3:4], s[0:1]
	v_div_scale_f64 v[3:4], vcc, s[0:1], v[3:4], s[0:1]
	s_mov_b32 s4, 0x3b39803f
	s_mov_b32 s5, 0xbc7abc9e
	v_mov_b32_e32 v14, 0xfca7ab0c
	v_mov_b32_e32 v15, 0x3e928af3
	s_mov_b32 s6, 0
	s_brev_b32 s7, 8
	v_mov_b32_e32 v16, 0x100
	v_rcp_f64_e32 v[7:8], v[5:6]
	v_fma_f64 v[10:11], -v[5:6], v[7:8], 1.0
	v_fma_f64 v[7:8], v[7:8], v[10:11], v[7:8]
	v_fma_f64 v[10:11], -v[5:6], v[7:8], 1.0
	v_fma_f64 v[7:8], v[7:8], v[10:11], v[7:8]
	v_mul_f64 v[10:11], v[3:4], v[7:8]
	v_fma_f64 v[3:4], -v[5:6], v[10:11], v[3:4]
	v_mov_b32_e32 v5, 0x66119130
	v_mov_b32_e32 v6, 0xbc5646da
	v_div_fmas_f64 v[3:4], v[3:4], v[7:8], v[10:11]
	v_cmp_lt_f64_e64 vcc, |v[1:2]|, s[6:7]
	v_cndmask_b32_e32 v16, 0, v16, vcc
	v_ldexp_f64 v[16:17], |v[1:2]|, v16
	v_div_fixup_f64 v[3:4], v[3:4], |v[1:2]|, s[0:1]
	s_mov_b32 s1, 0xbc60adb7
	s_mov_b32 s0, 0x54ca8b19
	v_rsq_f64_e32 v[18:19], v[16:17]
	v_add_f64 v[3:4], v[3:4], -2.0
	v_fma_f64 v[5:6], v[3:4], s[0:1], v[5:6]
	s_mov_b32 s1, 0x3c60adb7
	v_mul_f64 v[20:21], v[16:17], v[18:19]
	v_mul_f64 v[18:19], v[18:19], 0.5
	v_fma_f64 v[7:8], v[3:4], v[5:6], s[0:1]
	s_mov_b32 s0, 0x12d98421
	s_mov_b32 s1, 0x3c89be18
	v_fma_f64 v[22:23], -v[18:19], v[20:21], 0.5
	v_add_f64 v[7:8], v[7:8], s[0:1]
	s_mov_b32 s0, 0x76041cd
	s_mov_b32 s1, 0x3c83f3dd
	v_fma_f64 v[20:21], v[20:21], v[22:23], v[20:21]
	v_fma_f64 v[18:19], v[18:19], v[22:23], v[18:19]
	v_fma_f64 v[5:6], v[3:4], v[7:8], -v[5:6]
	v_fma_f64 v[22:23], -v[20:21], v[20:21], v[16:17]
	v_add_f64 v[5:6], v[5:6], s[0:1]
	s_mov_b32 s0, 0xabd21fe4
	s_mov_b32 s1, 0xbcb4600b
	v_fma_f64 v[7:8], v[3:4], v[5:6], -v[7:8]
	v_add_f64 v[7:8], v[7:8], s[0:1]
	s_mov_b32 s0, 0xd908de38
	s_mov_b32 s1, 0xbcb8aee7
	v_fma_f64 v[5:6], v[3:4], v[7:8], -v[5:6]
	;; [unrolled: 4-line block ×14, first 2 shown]
	v_add_f64 v[10:11], v[5:6], s[0:1]
	s_mov_b32 s0, 0x652b82fe
	s_mov_b32 s1, 0x3ff71547
	v_mul_f64 v[5:6], |v[1:2]|, s[0:1]
	s_mov_b32 s0, 0xa9225b87
	s_mov_b32 s1, 0x3e2d2c64
	v_fma_f64 v[7:8], v[3:4], v[10:11], -v[7:8]
	v_rndne_f64_e32 v[5:6], v[5:6]
	v_add_f64 v[12:13], v[7:8], s[0:1]
	s_mov_b32 s0, 0xfefa39ef
	s_mov_b32 s1, 0xbfe62e42
	v_fma_f64 v[7:8], v[5:6], s[0:1], |v[1:2]|
	s_mov_b32 s0, 0x80d6d56d
	s_mov_b32 s1, 0x3e585692
	v_fma_f64 v[10:11], v[3:4], v[12:13], -v[10:11]
	v_fma_f64 v[7:8], v[5:6], s[4:5], v[7:8]
	s_mov_b32 s4, 0x623fde64
	s_mov_b32 s5, 0x3ec71dee
	v_add_f64 v[10:11], v[10:11], s[0:1]
	s_mov_b32 s0, 0x6a5dcb37
	s_mov_b32 s1, 0x3e5ade15
	v_fma_f64 v[14:15], v[7:8], s[0:1], v[14:15]
	s_mov_b32 s0, 0xd9cd616e
	s_mov_b32 s1, 0x3e8b8007
	v_fma_f64 v[12:13], v[3:4], v[10:11], -v[12:13]
	v_fma_f64 v[14:15], v[7:8], v[14:15], s[4:5]
	s_mov_b32 s4, 0x14761f6e
	s_mov_b32 s5, 0x3f2a01a0
	v_add_f64 v[12:13], v[12:13], s[0:1]
	s_mov_b32 s0, 0x7c89e6b0
	s_mov_b32 s1, 0x3efa0199
	v_fma_f64 v[14:15], v[7:8], v[14:15], s[0:1]
	;; [unrolled: 10-line block ×4, first 2 shown]
	s_mov_b32 s0, 0xa2e59049
	s_mov_b32 s1, 0x3f6b998c
	v_fma_f64 v[10:11], v[3:4], v[12:13], -v[10:11]
	v_fma_f64 v[14:15], v[7:8], v[14:15], s[4:5]
	v_add_f64 v[10:11], v[10:11], s[0:1]
	s_mov_b32 s0, 11
	s_mov_b32 s1, 0x3fe00000
	v_fma_f64 v[14:15], v[7:8], v[14:15], s[0:1]
	s_mov_b32 s0, 0xaca809cb
	s_mov_b32 s1, 0x3fe9be62
	v_fma_f64 v[3:4], v[3:4], v[10:11], -v[12:13]
	v_fma_f64 v[10:11], v[22:23], v[18:19], v[20:21]
	v_fma_f64 v[14:15], v[7:8], v[14:15], 1.0
	v_add_f64 v[3:4], v[3:4], s[0:1]
	v_fma_f64 v[20:21], -v[10:11], v[10:11], v[16:17]
	s_mov_b32 s0, 0
	v_fma_f64 v[7:8], v[7:8], v[14:15], 1.0
	s_mov_b32 s1, 0x40900000
	v_cmp_ngt_f64_e64 s[0:1], |v[1:2]|, s[0:1]
	v_add_f64 v[3:4], v[3:4], -v[12:13]
	v_cvt_i32_f64_e32 v12, v[5:6]
	v_fma_f64 v[5:6], v[20:21], v[18:19], v[10:11]
	v_mov_b32_e32 v10, 0x7ff00000
	v_mov_b32_e32 v11, 0x260
	v_ldexp_f64 v[7:8], v[7:8], v12
	v_mul_f64 v[1:2], v[3:4], 0.5
	v_mov_b32_e32 v3, 0xffffff80
	v_cndmask_b32_e32 v3, 0, v3, vcc
	v_ldexp_f64 v[3:4], v[5:6], v3
	v_cmp_class_f64_e32 vcc, v[16:17], v11
	v_cndmask_b32_e64 v6, v10, v8, s[0:1]
	v_cndmask_b32_e64 v5, 0, v7, s[0:1]
	v_mul_f64 v[1:2], v[5:6], v[1:2]
	v_cndmask_b32_e32 v4, v4, v17, vcc
	v_cndmask_b32_e32 v3, v3, v16, vcc
	v_div_scale_f64 v[5:6], s[0:1], v[3:4], v[3:4], v[1:2]
	v_div_scale_f64 v[12:13], vcc, v[1:2], v[3:4], v[1:2]
	v_rcp_f64_e32 v[7:8], v[5:6]
	v_fma_f64 v[10:11], -v[5:6], v[7:8], 1.0
	v_fma_f64 v[7:8], v[7:8], v[10:11], v[7:8]
	v_fma_f64 v[10:11], -v[5:6], v[7:8], 1.0
	v_fma_f64 v[7:8], v[7:8], v[10:11], v[7:8]
	v_mul_f64 v[10:11], v[12:13], v[7:8]
	v_fma_f64 v[5:6], -v[5:6], v[10:11], v[12:13]
	v_div_fmas_f64 v[5:6], v[5:6], v[7:8], v[10:11]
	v_div_fixup_f64 v[3:4], v[5:6], v[3:4], v[1:2]
.LBB7_137:
	s_or_b64 exec, exec, s[2:3]
	v_add_u32_e32 v9, 0x80, v9
	global_store_dwordx2 v0, v[3:4], s[16:17]
	s_or_b64 exec, exec, s[48:49]
	v_cmp_gt_i32_e32 vcc, s55, v9
	s_and_saveexec_b64 s[48:49], vcc
	s_cbranch_execz .LBB7_124
.LBB7_138:
	s_andn2_b64 vcc, exec, s[36:37]
	s_cbranch_vccnz .LBB7_143
; %bb.139:
	s_andn2_b64 vcc, exec, s[46:47]
	s_cbranch_vccnz .LBB7_144
; %bb.140:
	s_add_i32 s56, s56, 1
	s_cmp_eq_u32 s54, 2
	s_cbranch_scc1 .LBB7_145
; %bb.141:
	s_and_b32 s50, s56, 28
	v_mov_b32_e32 v2, 0
	s_mov_b32 s51, 0
	s_mov_b64 s[46:47], s[34:35]
	v_mov_b32_e32 v0, 0
	v_mov_b32_e32 v1, v9
.LBB7_142:                              ; =>This Inner Loop Header: Depth=1
	s_load_dwordx8 s[8:15], s[46:47], 0x4
	s_load_dwordx4 s[28:31], s[46:47], 0x24
	s_load_dwordx8 s[0:7], s[44:45], 0x0
	s_add_u32 s46, s46, 48
	s_addc_u32 s47, s47, 0
	s_waitcnt lgkmcnt(0)
	v_mul_hi_u32 v3, s9, v1
	s_add_i32 s51, s51, 4
	s_add_u32 s44, s44, 32
	s_addc_u32 s45, s45, 0
	v_add_u32_e32 v3, v1, v3
	v_lshrrev_b32_e32 v3, s10, v3
	v_mul_lo_u32 v4, v3, s8
	v_mul_hi_u32 v5, s12, v3
	s_cmp_eq_u32 s50, s51
	v_sub_u32_e32 v1, v1, v4
	v_add_u32_e32 v4, v3, v5
	v_mul_lo_u32 v5, v1, s0
	v_mul_lo_u32 v6, v1, s1
	v_lshrrev_b32_e32 v1, s13, v4
	v_mul_lo_u32 v4, v1, s11
	v_mul_hi_u32 v7, s15, v1
	v_sub_u32_e32 v3, v3, v4
	v_add_u32_e32 v4, v1, v7
	v_lshrrev_b32_e32 v4, s28, v4
	v_mul_hi_u32 v8, s30, v4
	v_mul_lo_u32 v10, v4, s14
	v_mul_lo_u32 v7, v3, s2
	;; [unrolled: 1-line block ×3, first 2 shown]
	v_sub_u32_e32 v10, v1, v10
	v_add_u32_e32 v1, v4, v8
	v_lshrrev_b32_e32 v1, s31, v1
	v_mul_lo_u32 v8, v1, s29
	v_mul_lo_u32 v11, v10, s4
	v_mul_lo_u32 v10, v10, s5
	v_add3_u32 v0, v5, v0, v7
	v_sub_u32_e32 v4, v4, v8
	v_mul_lo_u32 v8, v4, s6
	v_mul_lo_u32 v4, v4, s7
	v_add3_u32 v2, v6, v2, v3
	v_add3_u32 v0, v11, v0, v8
	;; [unrolled: 1-line block ×3, first 2 shown]
	s_cbranch_scc0 .LBB7_142
	s_branch .LBB7_146
.LBB7_143:
                                        ; implicit-def: $vgpr0
                                        ; implicit-def: $vgpr2
	s_branch .LBB7_150
.LBB7_144:
	v_mov_b32_e32 v0, 0
	v_mov_b32_e32 v2, 0
	s_branch .LBB7_149
.LBB7_145:
	s_mov_b32 s50, 0
	v_mov_b32_e32 v0, 0
	v_mov_b32_e32 v2, 0
	;; [unrolled: 1-line block ×3, first 2 shown]
.LBB7_146:
	s_and_b32 s4, s56, 3
	s_cmp_eq_u32 s4, 0
	s_cbranch_scc1 .LBB7_149
; %bb.147:
	s_lshl_b32 s0, s50, 3
	s_add_u32 s0, s34, s0
	s_addc_u32 s1, s35, 0
	s_add_u32 s0, s0, 0xc4
	s_addc_u32 s1, s1, 0
	s_mul_i32 s2, s50, 12
	s_add_u32 s2, s34, s2
	s_addc_u32 s3, s35, 0
.LBB7_148:                              ; =>This Inner Loop Header: Depth=1
	s_load_dwordx2 s[6:7], s[2:3], 0x4
	s_load_dword s5, s[2:3], 0xc
	s_load_dwordx2 s[8:9], s[0:1], 0x0
	s_add_u32 s2, s2, 12
	s_addc_u32 s3, s3, 0
	s_waitcnt lgkmcnt(0)
	v_mul_hi_u32 v3, s7, v1
	s_add_u32 s0, s0, 8
	s_addc_u32 s1, s1, 0
	s_add_i32 s4, s4, -1
	v_add_u32_e32 v3, v1, v3
	v_lshrrev_b32_e32 v4, s5, v3
	v_mul_lo_u32 v3, v4, s6
	s_cmp_lg_u32 s4, 0
	v_sub_u32_e32 v3, v1, v3
	v_mad_u64_u32 v[0:1], s[6:7], v3, s8, v[0:1]
	v_mad_u64_u32 v[2:3], s[6:7], v3, s9, v[2:3]
	v_mov_b32_e32 v1, v4
	s_cbranch_scc1 .LBB7_148
.LBB7_149:
	s_cbranch_execnz .LBB7_152
.LBB7_150:
	s_waitcnt lgkmcnt(0)
	v_mul_hi_u32 v0, s25, v9
	s_andn2_b64 vcc, exec, s[42:43]
	v_add_u32_e32 v0, v9, v0
	v_lshrrev_b32_e32 v1, s26, v0
	v_mul_lo_u32 v0, v1, s24
	v_sub_u32_e32 v2, v9, v0
	v_mul_lo_u32 v0, v2, s20
	v_mul_lo_u32 v2, v2, s21
	s_cbranch_vccnz .LBB7_152
; %bb.151:
	v_mul_hi_u32 v3, s40, v1
	v_add_u32_e32 v3, v1, v3
	v_lshrrev_b32_e32 v3, s41, v3
	v_mul_lo_u32 v3, v3, s27
	v_sub_u32_e32 v3, v1, v3
	v_mad_u64_u32 v[0:1], s[0:1], v3, s22, v[0:1]
	v_mad_u64_u32 v[2:3], s[0:1], v3, s23, v[2:3]
.LBB7_152:
	s_waitcnt lgkmcnt(0)
	global_load_dwordx2 v[1:2], v2, s[18:19]
	s_mov_b32 s0, 0
	s_mov_b32 s1, 0x40200000
                                        ; implicit-def: $vgpr3_vgpr4
	s_waitcnt vmcnt(0)
	v_cmp_le_f64_e64 s[0:1], |v[1:2]|, s[0:1]
	s_and_saveexec_b64 s[2:3], s[0:1]
	s_xor_b64 s[0:1], exec, s[2:3]
	s_cbranch_execz .LBB7_154
; %bb.153:
	v_fma_f64 v[3:4], |v[1:2]|, 0.5, -2.0
	v_mov_b32_e32 v5, 0x977da589
	v_mov_b32_e32 v6, 0x3c833362
	s_mov_b32 s3, 0xbc545cb7
	s_mov_b32 s2, 0x2134d0ef
	;; [unrolled: 1-line block ×4, first 2 shown]
	v_mov_b32_e32 v11, 0xfca7ab0c
	v_fma_f64 v[5:6], v[3:4], s[2:3], v[5:6]
	s_mov_b32 s3, 0x3c545cb7
	v_mov_b32_e32 v12, 0x3e928af3
	v_fma_f64 v[7:8], v[3:4], v[5:6], s[2:3]
	s_mov_b32 s2, 0x721ebbb4
	s_mov_b32 s3, 0xbcb184eb
	v_add_f64 v[7:8], v[7:8], s[2:3]
	s_mov_b32 s2, 0x93f65eba
	s_mov_b32 s3, 0x3cdee6d8
	v_fma_f64 v[5:6], v[3:4], v[7:8], -v[5:6]
	v_add_f64 v[5:6], v[5:6], s[2:3]
	s_mov_b32 s2, 0xc297fbeb
	s_mov_b32 s3, 0xbd0a5022
	v_fma_f64 v[7:8], v[3:4], v[5:6], -v[7:8]
	;; [unrolled: 4-line block ×20, first 2 shown]
	v_add_f64 v[7:8], v[7:8], s[2:3]
	s_mov_b32 s2, 0x652b82fe
	s_mov_b32 s3, 0x3ff71547
	v_mul_f64 v[9:10], |v[1:2]|, s[2:3]
	s_mov_b32 s2, 0xf3dde3dd
	s_mov_b32 s3, 0x3f859961
	v_fma_f64 v[5:6], v[3:4], v[7:8], -v[5:6]
	v_rndne_f64_e32 v[9:10], v[9:10]
	v_add_f64 v[5:6], v[5:6], s[2:3]
	s_mov_b32 s2, 0xfefa39ef
	s_mov_b32 s3, 0xbfe62e42
	v_fma_f64 v[1:2], v[9:10], s[2:3], |v[1:2]|
	s_mov_b32 s2, 0xf121b6f0
	s_mov_b32 s3, 0xbf984e9e
	v_fma_f64 v[7:8], v[3:4], v[5:6], -v[7:8]
	v_fma_f64 v[1:2], v[9:10], s[4:5], v[1:2]
	s_mov_b32 s4, 0x623fde64
	s_mov_b32 s5, 0x3ec71dee
	v_add_f64 v[7:8], v[7:8], s[2:3]
	s_mov_b32 s2, 0x6a5dcb37
	s_mov_b32 s3, 0x3e5ade15
	v_fma_f64 v[11:12], v[1:2], s[2:3], v[11:12]
	s_mov_b32 s2, 0xcea8a32d
	s_mov_b32 s3, 0x3fa93e8a
	v_fma_f64 v[5:6], v[3:4], v[7:8], -v[5:6]
	v_fma_f64 v[11:12], v[1:2], v[11:12], s[4:5]
	s_mov_b32 s4, 0x14761f6e
	s_mov_b32 s5, 0x3f2a01a0
	v_add_f64 v[5:6], v[5:6], s[2:3]
	s_mov_b32 s2, 0x7c89e6b0
	s_mov_b32 s3, 0x3efa0199
	v_fma_f64 v[11:12], v[1:2], v[11:12], s[2:3]
	;; [unrolled: 10-line block ×4, first 2 shown]
	s_mov_b32 s2, 0xc057cd8d
	s_mov_b32 s3, 0xbfd37feb
	v_fma_f64 v[7:8], v[3:4], v[5:6], -v[7:8]
	v_fma_f64 v[11:12], v[1:2], v[11:12], s[4:5]
	v_add_f64 v[7:8], v[7:8], s[2:3]
	s_mov_b32 s2, 11
	s_mov_b32 s3, 0x3fe00000
	v_fma_f64 v[11:12], v[1:2], v[11:12], s[2:3]
	s_mov_b32 s2, 0x9035a22a
	s_mov_b32 s3, 0x3fe5a84e
	v_fma_f64 v[3:4], v[3:4], v[7:8], -v[5:6]
	v_fma_f64 v[7:8], v[1:2], v[11:12], 1.0
	v_add_f64 v[3:4], v[3:4], s[2:3]
	v_fma_f64 v[1:2], v[1:2], v[7:8], 1.0
	v_add_f64 v[3:4], v[3:4], -v[5:6]
	v_cvt_i32_f64_e32 v5, v[9:10]
	v_ldexp_f64 v[1:2], v[1:2], v5
	v_mul_f64 v[3:4], v[3:4], 0.5
	v_mul_f64 v[3:4], v[1:2], v[3:4]
                                        ; implicit-def: $vgpr1_vgpr2
.LBB7_154:
	s_andn2_saveexec_b64 s[2:3], s[0:1]
	s_cbranch_execz .LBB7_156
; %bb.155:
	s_mov_b32 s0, 0
	v_and_b32_e32 v4, 0x7fffffff, v2
	v_mov_b32_e32 v3, v1
	s_mov_b32 s1, 0x40400000
	v_div_scale_f64 v[5:6], s[4:5], v[3:4], v[3:4], s[0:1]
	v_div_scale_f64 v[3:4], vcc, s[0:1], v[3:4], s[0:1]
	s_mov_b32 s4, 0x3b39803f
	s_mov_b32 s5, 0xbc7abc9e
	v_mov_b32_e32 v13, 0xfca7ab0c
	v_mov_b32_e32 v14, 0x3e928af3
	s_mov_b32 s6, 0
	s_brev_b32 s7, 8
	v_mov_b32_e32 v15, 0x100
	v_rcp_f64_e32 v[7:8], v[5:6]
	v_fma_f64 v[9:10], -v[5:6], v[7:8], 1.0
	v_fma_f64 v[7:8], v[7:8], v[9:10], v[7:8]
	v_fma_f64 v[9:10], -v[5:6], v[7:8], 1.0
	v_fma_f64 v[7:8], v[7:8], v[9:10], v[7:8]
	v_mul_f64 v[9:10], v[3:4], v[7:8]
	v_fma_f64 v[3:4], -v[5:6], v[9:10], v[3:4]
	v_mov_b32_e32 v5, 0x66119130
	v_mov_b32_e32 v6, 0xbc5646da
	v_div_fmas_f64 v[3:4], v[3:4], v[7:8], v[9:10]
	v_cmp_lt_f64_e64 vcc, |v[1:2]|, s[6:7]
	v_cndmask_b32_e32 v15, 0, v15, vcc
	v_ldexp_f64 v[15:16], |v[1:2]|, v15
	v_div_fixup_f64 v[3:4], v[3:4], |v[1:2]|, s[0:1]
	s_mov_b32 s1, 0xbc60adb7
	s_mov_b32 s0, 0x54ca8b19
	v_rsq_f64_e32 v[17:18], v[15:16]
	v_add_f64 v[3:4], v[3:4], -2.0
	v_fma_f64 v[5:6], v[3:4], s[0:1], v[5:6]
	s_mov_b32 s1, 0x3c60adb7
	v_mul_f64 v[19:20], v[15:16], v[17:18]
	v_mul_f64 v[17:18], v[17:18], 0.5
	v_fma_f64 v[7:8], v[3:4], v[5:6], s[0:1]
	s_mov_b32 s0, 0x12d98421
	s_mov_b32 s1, 0x3c89be18
	v_fma_f64 v[21:22], -v[17:18], v[19:20], 0.5
	v_add_f64 v[7:8], v[7:8], s[0:1]
	s_mov_b32 s0, 0x76041cd
	s_mov_b32 s1, 0x3c83f3dd
	v_fma_f64 v[19:20], v[19:20], v[21:22], v[19:20]
	v_fma_f64 v[17:18], v[17:18], v[21:22], v[17:18]
	v_fma_f64 v[5:6], v[3:4], v[7:8], -v[5:6]
	v_fma_f64 v[21:22], -v[19:20], v[19:20], v[15:16]
	v_add_f64 v[5:6], v[5:6], s[0:1]
	s_mov_b32 s0, 0xabd21fe4
	s_mov_b32 s1, 0xbcb4600b
	v_fma_f64 v[7:8], v[3:4], v[5:6], -v[7:8]
	v_add_f64 v[7:8], v[7:8], s[0:1]
	s_mov_b32 s0, 0xd908de38
	s_mov_b32 s1, 0xbcb8aee7
	v_fma_f64 v[5:6], v[3:4], v[7:8], -v[5:6]
	;; [unrolled: 4-line block ×14, first 2 shown]
	v_add_f64 v[9:10], v[5:6], s[0:1]
	s_mov_b32 s0, 0x652b82fe
	s_mov_b32 s1, 0x3ff71547
	v_mul_f64 v[5:6], |v[1:2]|, s[0:1]
	s_mov_b32 s0, 0xa9225b87
	s_mov_b32 s1, 0x3e2d2c64
	v_fma_f64 v[7:8], v[3:4], v[9:10], -v[7:8]
	v_rndne_f64_e32 v[5:6], v[5:6]
	v_add_f64 v[11:12], v[7:8], s[0:1]
	s_mov_b32 s0, 0xfefa39ef
	s_mov_b32 s1, 0xbfe62e42
	v_fma_f64 v[7:8], v[5:6], s[0:1], |v[1:2]|
	s_mov_b32 s0, 0x80d6d56d
	s_mov_b32 s1, 0x3e585692
	v_fma_f64 v[9:10], v[3:4], v[11:12], -v[9:10]
	v_fma_f64 v[7:8], v[5:6], s[4:5], v[7:8]
	s_mov_b32 s4, 0x623fde64
	s_mov_b32 s5, 0x3ec71dee
	v_add_f64 v[9:10], v[9:10], s[0:1]
	s_mov_b32 s0, 0x6a5dcb37
	s_mov_b32 s1, 0x3e5ade15
	v_fma_f64 v[13:14], v[7:8], s[0:1], v[13:14]
	s_mov_b32 s0, 0xd9cd616e
	s_mov_b32 s1, 0x3e8b8007
	v_fma_f64 v[11:12], v[3:4], v[9:10], -v[11:12]
	v_fma_f64 v[13:14], v[7:8], v[13:14], s[4:5]
	s_mov_b32 s4, 0x14761f6e
	s_mov_b32 s5, 0x3f2a01a0
	v_add_f64 v[11:12], v[11:12], s[0:1]
	s_mov_b32 s0, 0x7c89e6b0
	s_mov_b32 s1, 0x3efa0199
	v_fma_f64 v[13:14], v[7:8], v[13:14], s[0:1]
	;; [unrolled: 10-line block ×4, first 2 shown]
	s_mov_b32 s0, 0xa2e59049
	s_mov_b32 s1, 0x3f6b998c
	v_fma_f64 v[9:10], v[3:4], v[11:12], -v[9:10]
	v_fma_f64 v[13:14], v[7:8], v[13:14], s[4:5]
	v_add_f64 v[9:10], v[9:10], s[0:1]
	s_mov_b32 s0, 11
	s_mov_b32 s1, 0x3fe00000
	v_fma_f64 v[13:14], v[7:8], v[13:14], s[0:1]
	s_mov_b32 s0, 0xaca809cb
	s_mov_b32 s1, 0x3fe9be62
	v_fma_f64 v[3:4], v[3:4], v[9:10], -v[11:12]
	v_fma_f64 v[9:10], v[21:22], v[17:18], v[19:20]
	v_fma_f64 v[13:14], v[7:8], v[13:14], 1.0
	v_add_f64 v[3:4], v[3:4], s[0:1]
	v_fma_f64 v[19:20], -v[9:10], v[9:10], v[15:16]
	s_mov_b32 s0, 0
	v_fma_f64 v[7:8], v[7:8], v[13:14], 1.0
	s_mov_b32 s1, 0x40900000
	v_cmp_ngt_f64_e64 s[0:1], |v[1:2]|, s[0:1]
	v_add_f64 v[3:4], v[3:4], -v[11:12]
	v_cvt_i32_f64_e32 v11, v[5:6]
	v_fma_f64 v[5:6], v[19:20], v[17:18], v[9:10]
	v_mov_b32_e32 v9, 0x7ff00000
	v_mov_b32_e32 v10, 0x260
	v_ldexp_f64 v[7:8], v[7:8], v11
	v_mul_f64 v[1:2], v[3:4], 0.5
	v_mov_b32_e32 v3, 0xffffff80
	v_cndmask_b32_e32 v3, 0, v3, vcc
	v_ldexp_f64 v[3:4], v[5:6], v3
	v_cmp_class_f64_e32 vcc, v[15:16], v10
	v_cndmask_b32_e64 v6, v9, v8, s[0:1]
	v_cndmask_b32_e64 v5, 0, v7, s[0:1]
	v_mul_f64 v[1:2], v[5:6], v[1:2]
	v_cndmask_b32_e32 v4, v4, v16, vcc
	v_cndmask_b32_e32 v3, v3, v15, vcc
	v_div_scale_f64 v[5:6], s[0:1], v[3:4], v[3:4], v[1:2]
	v_div_scale_f64 v[11:12], vcc, v[1:2], v[3:4], v[1:2]
	v_rcp_f64_e32 v[7:8], v[5:6]
	v_fma_f64 v[9:10], -v[5:6], v[7:8], 1.0
	v_fma_f64 v[7:8], v[7:8], v[9:10], v[7:8]
	v_fma_f64 v[9:10], -v[5:6], v[7:8], 1.0
	v_fma_f64 v[7:8], v[7:8], v[9:10], v[7:8]
	v_mul_f64 v[9:10], v[11:12], v[7:8]
	v_fma_f64 v[5:6], -v[5:6], v[9:10], v[11:12]
	v_div_fmas_f64 v[5:6], v[5:6], v[7:8], v[9:10]
	v_div_fixup_f64 v[3:4], v[5:6], v[3:4], v[1:2]
.LBB7_156:
	s_or_b64 exec, exec, s[2:3]
	global_store_dwordx2 v0, v[3:4], s[16:17]
	s_or_b64 exec, exec, s[48:49]
                                        ; implicit-def: $vgpr12
                                        ; implicit-def: $vgpr9
	s_andn2_saveexec_b64 s[0:1], s[38:39]
	s_cbranch_execz .LBB7_125
	s_branch .LBB7_8
	.section	.rodata,"a",@progbits
	.p2align	6, 0x0
	.amdhsa_kernel _ZN2at6native32elementwise_kernel_manual_unrollILi128ELi4EZNS0_22gpu_kernel_impl_nocastIZZZNS0_12_GLOBAL__N_130modified_bessel_i0_kernel_cudaERNS_18TensorIteratorBaseEENKUlvE_clEvENKUlvE_clEvEUldE_EEvS5_RKT_EUlibE_EEviT1_
		.amdhsa_group_segment_fixed_size 0
		.amdhsa_private_segment_fixed_size 0
		.amdhsa_kernarg_size 360
		.amdhsa_user_sgpr_count 6
		.amdhsa_user_sgpr_private_segment_buffer 1
		.amdhsa_user_sgpr_dispatch_ptr 0
		.amdhsa_user_sgpr_queue_ptr 0
		.amdhsa_user_sgpr_kernarg_segment_ptr 1
		.amdhsa_user_sgpr_dispatch_id 0
		.amdhsa_user_sgpr_flat_scratch_init 0
		.amdhsa_user_sgpr_private_segment_size 0
		.amdhsa_uses_dynamic_stack 0
		.amdhsa_system_sgpr_private_segment_wavefront_offset 0
		.amdhsa_system_sgpr_workgroup_id_x 1
		.amdhsa_system_sgpr_workgroup_id_y 0
		.amdhsa_system_sgpr_workgroup_id_z 0
		.amdhsa_system_sgpr_workgroup_info 0
		.amdhsa_system_vgpr_workitem_id 0
		.amdhsa_next_free_vgpr 33
		.amdhsa_next_free_sgpr 60
		.amdhsa_reserve_vcc 1
		.amdhsa_reserve_flat_scratch 0
		.amdhsa_float_round_mode_32 0
		.amdhsa_float_round_mode_16_64 0
		.amdhsa_float_denorm_mode_32 3
		.amdhsa_float_denorm_mode_16_64 3
		.amdhsa_dx10_clamp 1
		.amdhsa_ieee_mode 1
		.amdhsa_fp16_overflow 0
		.amdhsa_exception_fp_ieee_invalid_op 0
		.amdhsa_exception_fp_denorm_src 0
		.amdhsa_exception_fp_ieee_div_zero 0
		.amdhsa_exception_fp_ieee_overflow 0
		.amdhsa_exception_fp_ieee_underflow 0
		.amdhsa_exception_fp_ieee_inexact 0
		.amdhsa_exception_int_div_zero 0
	.end_amdhsa_kernel
	.section	.text._ZN2at6native32elementwise_kernel_manual_unrollILi128ELi4EZNS0_22gpu_kernel_impl_nocastIZZZNS0_12_GLOBAL__N_130modified_bessel_i0_kernel_cudaERNS_18TensorIteratorBaseEENKUlvE_clEvENKUlvE_clEvEUldE_EEvS5_RKT_EUlibE_EEviT1_,"axG",@progbits,_ZN2at6native32elementwise_kernel_manual_unrollILi128ELi4EZNS0_22gpu_kernel_impl_nocastIZZZNS0_12_GLOBAL__N_130modified_bessel_i0_kernel_cudaERNS_18TensorIteratorBaseEENKUlvE_clEvENKUlvE_clEvEUldE_EEvS5_RKT_EUlibE_EEviT1_,comdat
.Lfunc_end7:
	.size	_ZN2at6native32elementwise_kernel_manual_unrollILi128ELi4EZNS0_22gpu_kernel_impl_nocastIZZZNS0_12_GLOBAL__N_130modified_bessel_i0_kernel_cudaERNS_18TensorIteratorBaseEENKUlvE_clEvENKUlvE_clEvEUldE_EEvS5_RKT_EUlibE_EEviT1_, .Lfunc_end7-_ZN2at6native32elementwise_kernel_manual_unrollILi128ELi4EZNS0_22gpu_kernel_impl_nocastIZZZNS0_12_GLOBAL__N_130modified_bessel_i0_kernel_cudaERNS_18TensorIteratorBaseEENKUlvE_clEvENKUlvE_clEvEUldE_EEvS5_RKT_EUlibE_EEviT1_
                                        ; -- End function
	.set _ZN2at6native32elementwise_kernel_manual_unrollILi128ELi4EZNS0_22gpu_kernel_impl_nocastIZZZNS0_12_GLOBAL__N_130modified_bessel_i0_kernel_cudaERNS_18TensorIteratorBaseEENKUlvE_clEvENKUlvE_clEvEUldE_EEvS5_RKT_EUlibE_EEviT1_.num_vgpr, 33
	.set _ZN2at6native32elementwise_kernel_manual_unrollILi128ELi4EZNS0_22gpu_kernel_impl_nocastIZZZNS0_12_GLOBAL__N_130modified_bessel_i0_kernel_cudaERNS_18TensorIteratorBaseEENKUlvE_clEvENKUlvE_clEvEUldE_EEvS5_RKT_EUlibE_EEviT1_.num_agpr, 0
	.set _ZN2at6native32elementwise_kernel_manual_unrollILi128ELi4EZNS0_22gpu_kernel_impl_nocastIZZZNS0_12_GLOBAL__N_130modified_bessel_i0_kernel_cudaERNS_18TensorIteratorBaseEENKUlvE_clEvENKUlvE_clEvEUldE_EEvS5_RKT_EUlibE_EEviT1_.numbered_sgpr, 60
	.set _ZN2at6native32elementwise_kernel_manual_unrollILi128ELi4EZNS0_22gpu_kernel_impl_nocastIZZZNS0_12_GLOBAL__N_130modified_bessel_i0_kernel_cudaERNS_18TensorIteratorBaseEENKUlvE_clEvENKUlvE_clEvEUldE_EEvS5_RKT_EUlibE_EEviT1_.num_named_barrier, 0
	.set _ZN2at6native32elementwise_kernel_manual_unrollILi128ELi4EZNS0_22gpu_kernel_impl_nocastIZZZNS0_12_GLOBAL__N_130modified_bessel_i0_kernel_cudaERNS_18TensorIteratorBaseEENKUlvE_clEvENKUlvE_clEvEUldE_EEvS5_RKT_EUlibE_EEviT1_.private_seg_size, 0
	.set _ZN2at6native32elementwise_kernel_manual_unrollILi128ELi4EZNS0_22gpu_kernel_impl_nocastIZZZNS0_12_GLOBAL__N_130modified_bessel_i0_kernel_cudaERNS_18TensorIteratorBaseEENKUlvE_clEvENKUlvE_clEvEUldE_EEvS5_RKT_EUlibE_EEviT1_.uses_vcc, 1
	.set _ZN2at6native32elementwise_kernel_manual_unrollILi128ELi4EZNS0_22gpu_kernel_impl_nocastIZZZNS0_12_GLOBAL__N_130modified_bessel_i0_kernel_cudaERNS_18TensorIteratorBaseEENKUlvE_clEvENKUlvE_clEvEUldE_EEvS5_RKT_EUlibE_EEviT1_.uses_flat_scratch, 0
	.set _ZN2at6native32elementwise_kernel_manual_unrollILi128ELi4EZNS0_22gpu_kernel_impl_nocastIZZZNS0_12_GLOBAL__N_130modified_bessel_i0_kernel_cudaERNS_18TensorIteratorBaseEENKUlvE_clEvENKUlvE_clEvEUldE_EEvS5_RKT_EUlibE_EEviT1_.has_dyn_sized_stack, 0
	.set _ZN2at6native32elementwise_kernel_manual_unrollILi128ELi4EZNS0_22gpu_kernel_impl_nocastIZZZNS0_12_GLOBAL__N_130modified_bessel_i0_kernel_cudaERNS_18TensorIteratorBaseEENKUlvE_clEvENKUlvE_clEvEUldE_EEvS5_RKT_EUlibE_EEviT1_.has_recursion, 0
	.set _ZN2at6native32elementwise_kernel_manual_unrollILi128ELi4EZNS0_22gpu_kernel_impl_nocastIZZZNS0_12_GLOBAL__N_130modified_bessel_i0_kernel_cudaERNS_18TensorIteratorBaseEENKUlvE_clEvENKUlvE_clEvEUldE_EEvS5_RKT_EUlibE_EEviT1_.has_indirect_call, 0
	.section	.AMDGPU.csdata,"",@progbits
; Kernel info:
; codeLenInByte = 28784
; TotalNumSgprs: 64
; NumVgprs: 33
; ScratchSize: 0
; MemoryBound: 0
; FloatMode: 240
; IeeeMode: 1
; LDSByteSize: 0 bytes/workgroup (compile time only)
; SGPRBlocks: 7
; VGPRBlocks: 8
; NumSGPRsForWavesPerEU: 64
; NumVGPRsForWavesPerEU: 33
; Occupancy: 7
; WaveLimiterHint : 1
; COMPUTE_PGM_RSRC2:SCRATCH_EN: 0
; COMPUTE_PGM_RSRC2:USER_SGPR: 6
; COMPUTE_PGM_RSRC2:TRAP_HANDLER: 0
; COMPUTE_PGM_RSRC2:TGID_X_EN: 1
; COMPUTE_PGM_RSRC2:TGID_Y_EN: 0
; COMPUTE_PGM_RSRC2:TGID_Z_EN: 0
; COMPUTE_PGM_RSRC2:TIDIG_COMP_CNT: 0
	.section	.text._ZN2at6native32elementwise_kernel_manual_unrollILi128ELi4EZNS0_15gpu_kernel_implIZZZNS0_12_GLOBAL__N_130modified_bessel_i0_kernel_cudaERNS_18TensorIteratorBaseEENKUlvE_clEvENKUlvE_clEvEUldE_EEvS5_RKT_EUlibE_EEviT1_,"axG",@progbits,_ZN2at6native32elementwise_kernel_manual_unrollILi128ELi4EZNS0_15gpu_kernel_implIZZZNS0_12_GLOBAL__N_130modified_bessel_i0_kernel_cudaERNS_18TensorIteratorBaseEENKUlvE_clEvENKUlvE_clEvEUldE_EEvS5_RKT_EUlibE_EEviT1_,comdat
	.globl	_ZN2at6native32elementwise_kernel_manual_unrollILi128ELi4EZNS0_15gpu_kernel_implIZZZNS0_12_GLOBAL__N_130modified_bessel_i0_kernel_cudaERNS_18TensorIteratorBaseEENKUlvE_clEvENKUlvE_clEvEUldE_EEvS5_RKT_EUlibE_EEviT1_ ; -- Begin function _ZN2at6native32elementwise_kernel_manual_unrollILi128ELi4EZNS0_15gpu_kernel_implIZZZNS0_12_GLOBAL__N_130modified_bessel_i0_kernel_cudaERNS_18TensorIteratorBaseEENKUlvE_clEvENKUlvE_clEvEUldE_EEvS5_RKT_EUlibE_EEviT1_
	.p2align	8
	.type	_ZN2at6native32elementwise_kernel_manual_unrollILi128ELi4EZNS0_15gpu_kernel_implIZZZNS0_12_GLOBAL__N_130modified_bessel_i0_kernel_cudaERNS_18TensorIteratorBaseEENKUlvE_clEvENKUlvE_clEvEUldE_EEvS5_RKT_EUlibE_EEviT1_,@function
_ZN2at6native32elementwise_kernel_manual_unrollILi128ELi4EZNS0_15gpu_kernel_implIZZZNS0_12_GLOBAL__N_130modified_bessel_i0_kernel_cudaERNS_18TensorIteratorBaseEENKUlvE_clEvENKUlvE_clEvEUldE_EEvS5_RKT_EUlibE_EEviT1_: ; @_ZN2at6native32elementwise_kernel_manual_unrollILi128ELi4EZNS0_15gpu_kernel_implIZZZNS0_12_GLOBAL__N_130modified_bessel_i0_kernel_cudaERNS_18TensorIteratorBaseEENKUlvE_clEvENKUlvE_clEvEUldE_EEvS5_RKT_EUlibE_EEviT1_
; %bb.0:
	v_mov_b32_e32 v1, 0
	global_load_ushort v1, v1, s[4:5] offset:33
	s_load_dwordx4 s[8:11], s[4:5], 0x8
	s_load_dwordx2 s[2:3], s[4:5], 0x18
	s_load_dword s38, s[4:5], 0x0
	v_lshl_or_b32 v14, s6, 9, v0
	v_or_b32_e32 v0, 0x180, v14
	s_mov_b64 s[12:13], 0
	s_mov_b64 s[6:7], 0
	s_waitcnt lgkmcnt(0)
	v_cmp_le_i32_e32 vcc, s38, v0
	s_waitcnt vmcnt(0)
	v_readfirstlane_b32 s33, v1
	s_and_b32 s0, 0xffff, s33
	s_lshr_b32 s42, s0, 8
	s_and_saveexec_b64 s[0:1], vcc
	s_xor_b64 s[4:5], exec, s[0:1]
	s_cbranch_execz .LBB8_1043
; %bb.1:
	v_cmp_gt_i32_e32 vcc, s38, v14
	s_mov_b64 s[18:19], -1
	s_mov_b64 s[20:21], 0
	s_mov_b64 s[14:15], 0
	s_and_saveexec_b64 s[16:17], vcc
	s_cbranch_execz .LBB8_256
; %bb.2:
	v_mul_lo_u32 v0, v14, s3
	v_mov_b32_e32 v1, s11
	s_and_b32 s22, 0xffff, s42
	s_cmp_lt_i32 s22, 11
	v_ashrrev_i32_e32 v2, 31, v0
	v_add_co_u32_e32 v0, vcc, s10, v0
	v_addc_co_u32_e32 v1, vcc, v1, v2, vcc
	s_cbranch_scc1 .LBB8_9
; %bb.3:
	s_cmp_gt_i32 s22, 25
	s_cbranch_scc0 .LBB8_22
; %bb.4:
	s_cmp_gt_i32 s22, 28
	s_cbranch_scc0 .LBB8_26
; %bb.5:
	s_cmp_gt_i32 s22, 43
	s_cbranch_scc0 .LBB8_28
; %bb.6:
	s_cmp_gt_i32 s22, 45
	s_cbranch_scc0 .LBB8_30
; %bb.7:
	s_cmp_eq_u32 s22, 46
	s_cbranch_scc0 .LBB8_32
; %bb.8:
	global_load_dword v2, v[0:1], off
	s_mov_b64 s[0:1], -1
	s_waitcnt vmcnt(0)
	v_lshlrev_b32_e32 v2, 16, v2
	v_cvt_f64_f32_e32 v[2:3], v2
	s_branch .LBB8_34
.LBB8_9:
                                        ; implicit-def: $vgpr2_vgpr3
	s_mov_b64 s[0:1], 0
	s_cbranch_execnz .LBB8_207
.LBB8_10:
	s_andn2_b64 vcc, exec, s[0:1]
	s_cbranch_vccnz .LBB8_254
.LBB8_11:
	s_mov_b32 s0, 0
	s_mov_b32 s1, 0x40200000
	s_waitcnt vmcnt(0)
	v_cmp_le_f64_e64 s[0:1], |v[2:3]|, s[0:1]
                                        ; implicit-def: $vgpr0_vgpr1
	s_and_saveexec_b64 s[6:7], s[0:1]
	s_xor_b64 s[0:1], exec, s[6:7]
	s_cbranch_execz .LBB8_13
; %bb.12:
	v_fma_f64 v[0:1], |v[2:3]|, 0.5, -2.0
	v_mov_b32_e32 v4, 0x977da589
	v_mov_b32_e32 v5, 0x3c833362
	s_mov_b32 s7, 0xbc545cb7
	s_mov_b32 s6, 0x2134d0ef
	;; [unrolled: 1-line block ×4, first 2 shown]
	v_mov_b32_e32 v10, 0xfca7ab0c
	v_fma_f64 v[4:5], v[0:1], s[6:7], v[4:5]
	s_mov_b32 s7, 0x3c545cb7
	v_mov_b32_e32 v11, 0x3e928af3
	v_fma_f64 v[6:7], v[0:1], v[4:5], s[6:7]
	s_mov_b32 s6, 0x721ebbb4
	s_mov_b32 s7, 0xbcb184eb
	v_add_f64 v[6:7], v[6:7], s[6:7]
	s_mov_b32 s6, 0x93f65eba
	s_mov_b32 s7, 0x3cdee6d8
	v_fma_f64 v[4:5], v[0:1], v[6:7], -v[4:5]
	v_add_f64 v[4:5], v[4:5], s[6:7]
	s_mov_b32 s6, 0xc297fbeb
	s_mov_b32 s7, 0xbd0a5022
	v_fma_f64 v[6:7], v[0:1], v[4:5], -v[6:7]
	;; [unrolled: 4-line block ×20, first 2 shown]
	v_add_f64 v[6:7], v[6:7], s[6:7]
	s_mov_b32 s6, 0x652b82fe
	s_mov_b32 s7, 0x3ff71547
	v_mul_f64 v[8:9], |v[2:3]|, s[6:7]
	s_mov_b32 s6, 0xf3dde3dd
	s_mov_b32 s7, 0x3f859961
	v_fma_f64 v[4:5], v[0:1], v[6:7], -v[4:5]
	v_rndne_f64_e32 v[8:9], v[8:9]
	v_add_f64 v[4:5], v[4:5], s[6:7]
	s_mov_b32 s6, 0xfefa39ef
	s_mov_b32 s7, 0xbfe62e42
	v_fma_f64 v[2:3], v[8:9], s[6:7], |v[2:3]|
	s_mov_b32 s6, 0xf121b6f0
	s_mov_b32 s7, 0xbf984e9e
	v_fma_f64 v[6:7], v[0:1], v[4:5], -v[6:7]
	v_fma_f64 v[2:3], v[8:9], s[18:19], v[2:3]
	s_mov_b32 s18, 0x623fde64
	s_mov_b32 s19, 0x3ec71dee
	v_add_f64 v[6:7], v[6:7], s[6:7]
	s_mov_b32 s6, 0x6a5dcb37
	s_mov_b32 s7, 0x3e5ade15
	v_fma_f64 v[10:11], v[2:3], s[6:7], v[10:11]
	s_mov_b32 s6, 0xcea8a32d
	s_mov_b32 s7, 0x3fa93e8a
	v_fma_f64 v[4:5], v[0:1], v[6:7], -v[4:5]
	v_fma_f64 v[10:11], v[2:3], v[10:11], s[18:19]
	s_mov_b32 s18, 0x14761f6e
	s_mov_b32 s19, 0x3f2a01a0
	v_add_f64 v[4:5], v[4:5], s[6:7]
	s_mov_b32 s6, 0x7c89e6b0
	s_mov_b32 s7, 0x3efa0199
	v_fma_f64 v[10:11], v[2:3], v[10:11], s[6:7]
	;; [unrolled: 10-line block ×4, first 2 shown]
	s_mov_b32 s6, 0xc057cd8d
	s_mov_b32 s7, 0xbfd37feb
	v_fma_f64 v[6:7], v[0:1], v[4:5], -v[6:7]
	v_fma_f64 v[10:11], v[2:3], v[10:11], s[18:19]
	v_add_f64 v[6:7], v[6:7], s[6:7]
	s_mov_b32 s6, 11
	s_mov_b32 s7, 0x3fe00000
	v_fma_f64 v[10:11], v[2:3], v[10:11], s[6:7]
	s_mov_b32 s6, 0x9035a22a
	s_mov_b32 s7, 0x3fe5a84e
	v_fma_f64 v[0:1], v[0:1], v[6:7], -v[4:5]
	v_fma_f64 v[6:7], v[2:3], v[10:11], 1.0
	v_add_f64 v[0:1], v[0:1], s[6:7]
	v_fma_f64 v[2:3], v[2:3], v[6:7], 1.0
	v_add_f64 v[0:1], v[0:1], -v[4:5]
	v_cvt_i32_f64_e32 v4, v[8:9]
	v_ldexp_f64 v[2:3], v[2:3], v4
	v_mul_f64 v[0:1], v[0:1], 0.5
	v_mul_f64 v[0:1], v[2:3], v[0:1]
                                        ; implicit-def: $vgpr2_vgpr3
.LBB8_13:
	s_andn2_saveexec_b64 s[6:7], s[0:1]
	s_cbranch_execz .LBB8_15
; %bb.14:
	s_mov_b32 s0, 0
	v_and_b32_e32 v1, 0x7fffffff, v3
	v_mov_b32_e32 v0, v2
	s_mov_b32 s1, 0x40400000
	v_div_scale_f64 v[4:5], s[18:19], v[0:1], v[0:1], s[0:1]
	v_div_scale_f64 v[0:1], vcc, s[0:1], v[0:1], s[0:1]
	s_mov_b32 s18, 0x3b39803f
	s_mov_b32 s19, 0xbc7abc9e
	v_mov_b32_e32 v12, 0xfca7ab0c
	v_mov_b32_e32 v13, 0x3e928af3
	s_mov_b32 s22, 0
	s_brev_b32 s23, 8
	v_mov_b32_e32 v15, 0x100
	v_rcp_f64_e32 v[6:7], v[4:5]
	v_fma_f64 v[8:9], -v[4:5], v[6:7], 1.0
	v_fma_f64 v[6:7], v[6:7], v[8:9], v[6:7]
	v_fma_f64 v[8:9], -v[4:5], v[6:7], 1.0
	v_fma_f64 v[6:7], v[6:7], v[8:9], v[6:7]
	v_mul_f64 v[8:9], v[0:1], v[6:7]
	v_fma_f64 v[0:1], -v[4:5], v[8:9], v[0:1]
	v_mov_b32_e32 v4, 0x66119130
	v_mov_b32_e32 v5, 0xbc5646da
	v_div_fmas_f64 v[0:1], v[0:1], v[6:7], v[8:9]
	v_cmp_lt_f64_e64 vcc, |v[2:3]|, s[22:23]
	v_cndmask_b32_e32 v15, 0, v15, vcc
	v_ldexp_f64 v[15:16], |v[2:3]|, v15
	v_div_fixup_f64 v[0:1], v[0:1], |v[2:3]|, s[0:1]
	s_mov_b32 s1, 0xbc60adb7
	s_mov_b32 s0, 0x54ca8b19
	v_rsq_f64_e32 v[17:18], v[15:16]
	v_add_f64 v[0:1], v[0:1], -2.0
	v_fma_f64 v[4:5], v[0:1], s[0:1], v[4:5]
	s_mov_b32 s1, 0x3c60adb7
	v_mul_f64 v[19:20], v[15:16], v[17:18]
	v_mul_f64 v[17:18], v[17:18], 0.5
	v_fma_f64 v[6:7], v[0:1], v[4:5], s[0:1]
	s_mov_b32 s0, 0x12d98421
	s_mov_b32 s1, 0x3c89be18
	v_fma_f64 v[21:22], -v[17:18], v[19:20], 0.5
	v_add_f64 v[6:7], v[6:7], s[0:1]
	s_mov_b32 s0, 0x76041cd
	s_mov_b32 s1, 0x3c83f3dd
	v_fma_f64 v[19:20], v[19:20], v[21:22], v[19:20]
	v_fma_f64 v[17:18], v[17:18], v[21:22], v[17:18]
	v_fma_f64 v[4:5], v[0:1], v[6:7], -v[4:5]
	v_fma_f64 v[21:22], -v[19:20], v[19:20], v[15:16]
	v_add_f64 v[4:5], v[4:5], s[0:1]
	s_mov_b32 s0, 0xabd21fe4
	s_mov_b32 s1, 0xbcb4600b
	v_fma_f64 v[6:7], v[0:1], v[4:5], -v[6:7]
	v_add_f64 v[6:7], v[6:7], s[0:1]
	s_mov_b32 s0, 0xd908de38
	s_mov_b32 s1, 0xbcb8aee7
	v_fma_f64 v[4:5], v[0:1], v[6:7], -v[4:5]
	;; [unrolled: 4-line block ×14, first 2 shown]
	v_add_f64 v[8:9], v[4:5], s[0:1]
	s_mov_b32 s0, 0x652b82fe
	s_mov_b32 s1, 0x3ff71547
	v_mul_f64 v[4:5], |v[2:3]|, s[0:1]
	s_mov_b32 s0, 0xa9225b87
	s_mov_b32 s1, 0x3e2d2c64
	v_fma_f64 v[6:7], v[0:1], v[8:9], -v[6:7]
	v_rndne_f64_e32 v[4:5], v[4:5]
	v_add_f64 v[10:11], v[6:7], s[0:1]
	s_mov_b32 s0, 0xfefa39ef
	s_mov_b32 s1, 0xbfe62e42
	v_fma_f64 v[6:7], v[4:5], s[0:1], |v[2:3]|
	s_mov_b32 s0, 0x80d6d56d
	s_mov_b32 s1, 0x3e585692
	v_fma_f64 v[8:9], v[0:1], v[10:11], -v[8:9]
	v_fma_f64 v[6:7], v[4:5], s[18:19], v[6:7]
	s_mov_b32 s18, 0x623fde64
	s_mov_b32 s19, 0x3ec71dee
	v_add_f64 v[8:9], v[8:9], s[0:1]
	s_mov_b32 s0, 0x6a5dcb37
	s_mov_b32 s1, 0x3e5ade15
	v_fma_f64 v[12:13], v[6:7], s[0:1], v[12:13]
	s_mov_b32 s0, 0xd9cd616e
	s_mov_b32 s1, 0x3e8b8007
	v_fma_f64 v[10:11], v[0:1], v[8:9], -v[10:11]
	v_fma_f64 v[12:13], v[6:7], v[12:13], s[18:19]
	s_mov_b32 s18, 0x14761f6e
	s_mov_b32 s19, 0x3f2a01a0
	v_add_f64 v[10:11], v[10:11], s[0:1]
	s_mov_b32 s0, 0x7c89e6b0
	s_mov_b32 s1, 0x3efa0199
	v_fma_f64 v[12:13], v[6:7], v[12:13], s[0:1]
	s_mov_b32 s0, 0xc101c586
	s_mov_b32 s1, 0x3ec8412b
	v_fma_f64 v[8:9], v[0:1], v[10:11], -v[8:9]
	v_fma_f64 v[12:13], v[6:7], v[12:13], s[18:19]
	s_mov_b32 s18, 0x11122322
	s_mov_b32 s19, 0x3f811111
	v_add_f64 v[8:9], v[8:9], s[0:1]
	s_mov_b32 s0, 0x1852b7b0
	s_mov_b32 s1, 0x3f56c16c
	v_fma_f64 v[12:13], v[6:7], v[12:13], s[0:1]
	s_mov_b32 s0, 0x78999e52
	s_mov_b32 s1, 0x3f120fa3
	v_fma_f64 v[10:11], v[0:1], v[8:9], -v[10:11]
	v_fma_f64 v[12:13], v[6:7], v[12:13], s[18:19]
	s_mov_b32 s18, 0x55555511
	s_mov_b32 s19, 0x3fc55555
	v_add_f64 v[10:11], v[10:11], s[0:1]
	s_mov_b32 s0, 0x555502a1
	s_mov_b32 s1, 0x3fa55555
	v_fma_f64 v[12:13], v[6:7], v[12:13], s[0:1]
	s_mov_b32 s0, 0xa2e59049
	s_mov_b32 s1, 0x3f6b998c
	v_fma_f64 v[8:9], v[0:1], v[10:11], -v[8:9]
	v_fma_f64 v[12:13], v[6:7], v[12:13], s[18:19]
	v_add_f64 v[8:9], v[8:9], s[0:1]
	s_mov_b32 s0, 11
	s_mov_b32 s1, 0x3fe00000
	v_fma_f64 v[12:13], v[6:7], v[12:13], s[0:1]
	s_mov_b32 s0, 0xaca809cb
	s_mov_b32 s1, 0x3fe9be62
	v_fma_f64 v[0:1], v[0:1], v[8:9], -v[10:11]
	v_fma_f64 v[8:9], v[21:22], v[17:18], v[19:20]
	v_fma_f64 v[12:13], v[6:7], v[12:13], 1.0
	v_add_f64 v[0:1], v[0:1], s[0:1]
	v_fma_f64 v[19:20], -v[8:9], v[8:9], v[15:16]
	s_mov_b32 s0, 0
	v_fma_f64 v[6:7], v[6:7], v[12:13], 1.0
	s_mov_b32 s1, 0x40900000
	v_cmp_ngt_f64_e64 s[0:1], |v[2:3]|, s[0:1]
	v_mov_b32_e32 v2, 0xffffff80
	v_cndmask_b32_e32 v2, 0, v2, vcc
	v_add_f64 v[0:1], v[0:1], -v[10:11]
	v_cvt_i32_f64_e32 v10, v[4:5]
	v_fma_f64 v[4:5], v[19:20], v[17:18], v[8:9]
	v_mov_b32_e32 v8, 0x7ff00000
	v_mov_b32_e32 v9, 0x260
	v_ldexp_f64 v[6:7], v[6:7], v10
	v_cmp_class_f64_e32 vcc, v[15:16], v9
	v_mul_f64 v[0:1], v[0:1], 0.5
	v_ldexp_f64 v[2:3], v[4:5], v2
	v_cndmask_b32_e64 v5, v8, v7, s[0:1]
	v_cndmask_b32_e64 v4, 0, v6, s[0:1]
	v_mul_f64 v[0:1], v[4:5], v[0:1]
	v_cndmask_b32_e32 v3, v3, v16, vcc
	v_cndmask_b32_e32 v2, v2, v15, vcc
	v_div_scale_f64 v[4:5], s[0:1], v[2:3], v[2:3], v[0:1]
	v_div_scale_f64 v[10:11], vcc, v[0:1], v[2:3], v[0:1]
	v_rcp_f64_e32 v[6:7], v[4:5]
	v_fma_f64 v[8:9], -v[4:5], v[6:7], 1.0
	v_fma_f64 v[6:7], v[6:7], v[8:9], v[6:7]
	v_fma_f64 v[8:9], -v[4:5], v[6:7], 1.0
	v_fma_f64 v[6:7], v[6:7], v[8:9], v[6:7]
	v_mul_f64 v[8:9], v[10:11], v[6:7]
	v_fma_f64 v[4:5], -v[4:5], v[8:9], v[10:11]
	v_div_fmas_f64 v[4:5], v[4:5], v[6:7], v[8:9]
	v_div_fixup_f64 v[0:1], v[4:5], v[2:3], v[0:1]
.LBB8_15:
	s_or_b64 exec, exec, s[6:7]
	v_mul_lo_u32 v2, v14, s2
	v_mov_b32_e32 v3, s9
	s_and_b32 s24, s33, 0xff
	s_cmp_lt_i32 s24, 11
	v_ashrrev_i32_e32 v5, 31, v2
	v_add_co_u32_e32 v4, vcc, s8, v2
	v_addc_co_u32_e32 v5, vcc, v3, v5, vcc
	s_cbranch_scc1 .LBB8_23
; %bb.16:
	s_and_b32 s25, 0xffff, s24
	s_cmp_gt_i32 s25, 25
	s_cbranch_scc0 .LBB8_27
; %bb.17:
	s_cmp_gt_i32 s25, 28
	s_cbranch_scc0 .LBB8_29
; %bb.18:
	s_cmp_gt_i32 s25, 43
	s_cbranch_scc0 .LBB8_31
; %bb.19:
	s_cmp_gt_i32 s25, 45
	s_cbranch_scc0 .LBB8_37
; %bb.20:
	s_mov_b64 s[18:19], 0
	s_mov_b64 s[0:1], -1
	s_cmp_eq_u32 s25, 46
	s_mov_b64 s[6:7], 0
	s_cbranch_scc0 .LBB8_38
; %bb.21:
	v_cvt_f32_f64_e32 v2, v[0:1]
	s_movk_i32 s0, 0x7fff
	v_mov_b32_e32 v3, 0x7fc0
	s_mov_b64 s[6:7], -1
	v_bfe_u32 v6, v2, 16, 1
	v_cmp_o_f32_e32 vcc, v2, v2
	v_add3_u32 v2, v2, v6, s0
	v_cndmask_b32_sdwa v2, v3, v2, vcc dst_sel:DWORD dst_unused:UNUSED_PAD src0_sel:DWORD src1_sel:WORD_1
	global_store_dword v[4:5], v2, off
	s_mov_b64 s[0:1], 0
	s_branch .LBB8_38
.LBB8_22:
	s_mov_b64 s[0:1], 0
                                        ; implicit-def: $vgpr2_vgpr3
	s_cbranch_execnz .LBB8_174
	s_branch .LBB8_206
.LBB8_23:
	s_mov_b64 s[0:1], 0
	s_mov_b64 s[6:7], 0
	s_cbranch_execnz .LBB8_107
.LBB8_24:
	s_andn2_b64 vcc, exec, s[6:7]
	s_cbranch_vccnz .LBB8_145
.LBB8_25:
	v_add_u32_e32 v14, 0x80, v14
	s_mov_b64 s[18:19], -1
	s_branch .LBB8_255
.LBB8_26:
	s_mov_b64 s[6:7], -1
	s_mov_b64 s[0:1], 0
                                        ; implicit-def: $vgpr2_vgpr3
	s_branch .LBB8_153
.LBB8_27:
	s_mov_b64 s[18:19], -1
	s_mov_b64 s[0:1], 0
	s_mov_b64 s[6:7], 0
	s_branch .LBB8_65
.LBB8_28:
	s_mov_b64 s[6:7], -1
	s_mov_b64 s[0:1], 0
                                        ; implicit-def: $vgpr2_vgpr3
	s_branch .LBB8_148
.LBB8_29:
	s_mov_b64 s[18:19], -1
	s_mov_b64 s[0:1], 0
	s_mov_b64 s[6:7], 0
	s_branch .LBB8_48
.LBB8_30:
	s_mov_b64 s[6:7], -1
	s_branch .LBB8_33
.LBB8_31:
	s_mov_b64 s[18:19], -1
	s_mov_b64 s[0:1], 0
	s_mov_b64 s[6:7], 0
	s_branch .LBB8_44
.LBB8_32:
	s_mov_b64 s[14:15], -1
.LBB8_33:
	s_mov_b64 s[0:1], 0
                                        ; implicit-def: $vgpr2_vgpr3
.LBB8_34:
	s_and_b64 vcc, exec, s[6:7]
	s_cbranch_vccz .LBB8_147
; %bb.35:
	s_cmp_eq_u32 s22, 44
	s_cbranch_scc0 .LBB8_146
; %bb.36:
	global_load_ubyte v4, v[0:1], off
	s_movk_i32 s6, 0xff
	v_bfrev_b32_e32 v5, 4
	v_mov_b32_e32 v6, 0x7ff80000
	v_bfrev_b32_e32 v7, 28
	s_mov_b64 s[0:1], -1
	s_mov_b64 s[14:15], 0
	s_waitcnt vmcnt(0)
	v_lshlrev_b32_e32 v2, 23, v4
	v_cvt_f64_f32_e32 v[2:3], v2
	v_cmp_ne_u32_e32 vcc, s6, v4
	v_cndmask_b32_e32 v2, v5, v2, vcc
	v_cndmask_b32_e32 v3, v6, v3, vcc
	v_cmp_ne_u32_e32 vcc, 0, v4
	v_cndmask_b32_e32 v3, v7, v3, vcc
	v_cndmask_b32_e32 v2, 0, v2, vcc
	s_branch .LBB8_147
.LBB8_37:
	s_mov_b64 s[18:19], -1
	s_mov_b64 s[0:1], 0
	s_mov_b64 s[6:7], 0
.LBB8_38:
	s_and_b64 vcc, exec, s[18:19]
	s_cbranch_vccz .LBB8_43
; %bb.39:
	s_cmp_eq_u32 s25, 44
	s_mov_b64 s[0:1], -1
	s_cbranch_scc0 .LBB8_43
; %bb.40:
	v_cvt_f32_f64_e32 v2, v[0:1]
	s_movk_i32 s0, 0xff
	v_mov_b32_e32 v6, 0xff
	v_bfe_u32 v3, v2, 23, 8
	v_cmp_ne_u32_e32 vcc, s0, v3
	s_and_saveexec_b64 s[6:7], vcc
; %bb.41:
	s_mov_b32 s0, 0x3fffff
	v_lshrrev_b32_e32 v6, 23, v2
	v_and_b32_e32 v7, 0x400000, v2
	v_and_or_b32 v2, v2, s0, v3
	v_cmp_ne_u32_e32 vcc, 0, v7
	v_cmp_ne_u32_e64 s[0:1], 0, v2
	s_and_b64 s[0:1], vcc, s[0:1]
	v_cndmask_b32_e64 v2, 0, 1, s[0:1]
	v_add_u32_e32 v6, v6, v2
; %bb.42:
	s_or_b64 exec, exec, s[6:7]
	s_mov_b64 s[6:7], -1
	s_mov_b64 s[0:1], 0
	global_store_byte v[4:5], v6, off
.LBB8_43:
	s_mov_b64 s[18:19], 0
.LBB8_44:
	s_and_b64 vcc, exec, s[18:19]
	s_cbranch_vccz .LBB8_47
; %bb.45:
	s_cmp_eq_u32 s25, 29
	s_mov_b64 s[0:1], -1
	s_cbranch_scc0 .LBB8_47
; %bb.46:
	v_trunc_f64_e32 v[2:3], v[0:1]
	s_movk_i32 s0, 0xffe0
	s_mov_b64 s[6:7], -1
	s_mov_b64 s[18:19], 0
	v_ldexp_f64 v[6:7], v[2:3], s0
	s_mov_b32 s0, 0
	s_mov_b32 s1, 0xc1f00000
	v_floor_f64_e32 v[6:7], v[6:7]
	v_fma_f64 v[2:3], v[6:7], s[0:1], v[2:3]
	v_cvt_u32_f64_e32 v7, v[6:7]
	s_mov_b64 s[0:1], 0
	v_cvt_u32_f64_e32 v6, v[2:3]
	global_store_dwordx2 v[4:5], v[6:7], off
	s_branch .LBB8_48
.LBB8_47:
	s_mov_b64 s[18:19], 0
.LBB8_48:
	s_and_b64 vcc, exec, s[18:19]
	s_cbranch_vccz .LBB8_64
; %bb.49:
	s_cmp_lt_i32 s25, 27
	s_mov_b64 s[6:7], -1
	s_cbranch_scc1 .LBB8_55
; %bb.50:
	v_cvt_u32_f64_e32 v2, v[0:1]
	s_cmp_gt_i32 s25, 27
	s_cbranch_scc0 .LBB8_52
; %bb.51:
	s_mov_b64 s[6:7], 0
	global_store_dword v[4:5], v2, off
.LBB8_52:
	s_andn2_b64 vcc, exec, s[6:7]
	s_cbranch_vccnz .LBB8_54
; %bb.53:
	global_store_short v[4:5], v2, off
.LBB8_54:
	s_mov_b64 s[6:7], 0
.LBB8_55:
	s_andn2_b64 vcc, exec, s[6:7]
	s_cbranch_vccnz .LBB8_63
; %bb.56:
	v_cvt_f32_f64_e32 v2, v[0:1]
	s_mov_b32 s6, 0x43800000
	v_mov_b32_e32 v6, 0x80
	v_and_b32_e32 v3, 0x7fffffff, v2
	v_cmp_gt_u32_e32 vcc, s6, v3
	s_and_saveexec_b64 s[6:7], vcc
	s_cbranch_execz .LBB8_62
; %bb.57:
	s_mov_b32 s18, 0x3bffffff
	v_cmp_lt_u32_e32 vcc, s18, v3
	s_mov_b64 s[18:19], 0
                                        ; implicit-def: $vgpr3
	s_and_saveexec_b64 s[22:23], vcc
	s_xor_b64 s[22:23], exec, s[22:23]
	s_cbranch_execz .LBB8_287
; %bb.58:
	v_bfe_u32 v3, v2, 20, 1
	s_mov_b32 s26, 0x487ffff
	v_add3_u32 v3, v2, v3, s26
	s_mov_b64 s[18:19], exec
	v_lshrrev_b32_e32 v3, 20, v3
	s_andn2_saveexec_b64 s[22:23], s[22:23]
	s_cbranch_execnz .LBB8_288
.LBB8_59:
	s_or_b64 exec, exec, s[22:23]
	v_mov_b32_e32 v6, 0
	s_and_saveexec_b64 s[22:23], s[18:19]
.LBB8_60:
	v_lshrrev_b32_e32 v2, 24, v2
	s_movk_i32 s18, 0x80
	v_and_or_b32 v6, v2, s18, v3
.LBB8_61:
	s_or_b64 exec, exec, s[22:23]
.LBB8_62:
	s_or_b64 exec, exec, s[6:7]
	global_store_byte v[4:5], v6, off
.LBB8_63:
	s_mov_b64 s[6:7], -1
.LBB8_64:
	s_mov_b64 s[18:19], 0
.LBB8_65:
	s_and_b64 vcc, exec, s[18:19]
	s_cbranch_vccz .LBB8_106
; %bb.66:
	s_cmp_gt_i32 s25, 22
	s_mov_b64 s[18:19], -1
	s_cbranch_scc0 .LBB8_98
; %bb.67:
	s_cmp_lt_i32 s25, 24
	s_mov_b64 s[6:7], -1
	s_cbranch_scc1 .LBB8_87
; %bb.68:
	s_cmp_gt_i32 s25, 24
	s_cbranch_scc0 .LBB8_76
; %bb.69:
	v_cvt_f32_f64_e32 v2, v[0:1]
	s_mov_b32 s6, 0x47800000
	v_mov_b32_e32 v6, 0x80
	v_and_b32_e32 v3, 0x7fffffff, v2
	v_cmp_gt_u32_e32 vcc, s6, v3
	s_and_saveexec_b64 s[6:7], vcc
	s_cbranch_execz .LBB8_75
; %bb.70:
	s_mov_b32 s18, 0x37ffffff
	v_cmp_lt_u32_e32 vcc, s18, v3
	s_mov_b64 s[18:19], 0
                                        ; implicit-def: $vgpr3
	s_and_saveexec_b64 s[22:23], vcc
	s_xor_b64 s[22:23], exec, s[22:23]
	s_cbranch_execz .LBB8_291
; %bb.71:
	v_bfe_u32 v3, v2, 21, 1
	s_mov_b32 s26, 0x88fffff
	v_add3_u32 v3, v2, v3, s26
	s_mov_b64 s[18:19], exec
	v_lshrrev_b32_e32 v3, 21, v3
	s_andn2_saveexec_b64 s[22:23], s[22:23]
	s_cbranch_execnz .LBB8_292
.LBB8_72:
	s_or_b64 exec, exec, s[22:23]
	v_mov_b32_e32 v6, 0
	s_and_saveexec_b64 s[22:23], s[18:19]
.LBB8_73:
	v_lshrrev_b32_e32 v2, 24, v2
	s_movk_i32 s18, 0x80
	v_and_or_b32 v6, v2, s18, v3
.LBB8_74:
	s_or_b64 exec, exec, s[22:23]
.LBB8_75:
	s_or_b64 exec, exec, s[6:7]
	s_mov_b64 s[6:7], 0
	global_store_byte v[4:5], v6, off
.LBB8_76:
	s_and_b64 vcc, exec, s[6:7]
	s_cbranch_vccz .LBB8_86
; %bb.77:
	v_cvt_f32_f64_e32 v2, v[0:1]
	s_mov_b32 s6, 0x43f00000
                                        ; implicit-def: $vgpr3
	v_and_b32_e32 v6, 0x7fffffff, v2
	v_cmp_gt_u32_e32 vcc, s6, v6
	s_and_saveexec_b64 s[6:7], vcc
	s_xor_b64 s[6:7], exec, s[6:7]
	s_cbranch_execz .LBB8_83
; %bb.78:
	s_mov_b32 s18, 0x3c7fffff
	v_cmp_lt_u32_e32 vcc, s18, v6
                                        ; implicit-def: $vgpr3
	s_and_saveexec_b64 s[18:19], vcc
	s_xor_b64 s[18:19], exec, s[18:19]
; %bb.79:
	v_bfe_u32 v3, v2, 20, 1
	s_mov_b32 s22, 0x407ffff
	v_add3_u32 v3, v2, v3, s22
	v_lshrrev_b32_e32 v6, 20, v3
	v_and_b32_e32 v3, 0xff00000, v3
	s_mov_b32 s22, 0x7f00000
	v_mov_b32_e32 v7, 0x7e
	v_cmp_ne_u32_e32 vcc, s22, v3
	v_cndmask_b32_e32 v3, v7, v6, vcc
; %bb.80:
	s_andn2_saveexec_b64 s[18:19], s[18:19]
; %bb.81:
	s_mov_b32 s22, 0x46800000
	v_add_f32_e64 v3, |v2|, s22
; %bb.82:
	s_or_b64 exec, exec, s[18:19]
                                        ; implicit-def: $vgpr6
.LBB8_83:
	s_andn2_saveexec_b64 s[6:7], s[6:7]
; %bb.84:
	s_mov_b32 s18, 0x7f800000
	v_mov_b32_e32 v3, 0x7e
	v_mov_b32_e32 v7, 0x7f
	v_cmp_lt_u32_e32 vcc, s18, v6
	v_cndmask_b32_e32 v3, v3, v7, vcc
; %bb.85:
	s_or_b64 exec, exec, s[6:7]
	v_lshrrev_b32_e32 v2, 24, v2
	s_movk_i32 s6, 0x80
	v_and_or_b32 v2, v2, s6, v3
	global_store_byte v[4:5], v2, off
.LBB8_86:
	s_mov_b64 s[6:7], 0
.LBB8_87:
	s_andn2_b64 vcc, exec, s[6:7]
	s_cbranch_vccnz .LBB8_97
; %bb.88:
	v_cvt_f32_f64_e32 v2, v[0:1]
	s_mov_b32 s6, 0x47800000
                                        ; implicit-def: $vgpr3
	v_and_b32_e32 v6, 0x7fffffff, v2
	v_cmp_gt_u32_e32 vcc, s6, v6
	s_and_saveexec_b64 s[6:7], vcc
	s_xor_b64 s[6:7], exec, s[6:7]
	s_cbranch_execz .LBB8_94
; %bb.89:
	s_mov_b32 s18, 0x387fffff
	v_cmp_lt_u32_e32 vcc, s18, v6
                                        ; implicit-def: $vgpr3
	s_and_saveexec_b64 s[18:19], vcc
	s_xor_b64 s[18:19], exec, s[18:19]
; %bb.90:
	v_bfe_u32 v3, v2, 21, 1
	s_mov_b32 s22, 0x80fffff
	v_add3_u32 v3, v2, v3, s22
	v_lshrrev_b32_e32 v3, 21, v3
; %bb.91:
	s_andn2_saveexec_b64 s[18:19], s[18:19]
; %bb.92:
	s_mov_b32 s22, 0x43000000
	v_add_f32_e64 v3, |v2|, s22
; %bb.93:
	s_or_b64 exec, exec, s[18:19]
                                        ; implicit-def: $vgpr6
.LBB8_94:
	s_andn2_saveexec_b64 s[6:7], s[6:7]
; %bb.95:
	s_mov_b32 s18, 0x7f800000
	v_mov_b32_e32 v3, 0x7c
	v_mov_b32_e32 v7, 0x7f
	v_cmp_lt_u32_e32 vcc, s18, v6
	v_cndmask_b32_e32 v3, v3, v7, vcc
; %bb.96:
	s_or_b64 exec, exec, s[6:7]
	v_lshrrev_b32_e32 v2, 24, v2
	s_movk_i32 s6, 0x80
	v_and_or_b32 v2, v2, s6, v3
	global_store_byte v[4:5], v2, off
.LBB8_97:
	s_mov_b64 s[18:19], 0
	s_mov_b64 s[6:7], -1
.LBB8_98:
	s_andn2_b64 vcc, exec, s[18:19]
	s_cbranch_vccnz .LBB8_106
; %bb.99:
	s_cmp_gt_i32 s25, 14
	s_mov_b64 s[18:19], -1
	s_cbranch_scc0 .LBB8_103
; %bb.100:
	s_cmp_eq_u32 s25, 15
	s_mov_b64 s[0:1], -1
	s_cbranch_scc0 .LBB8_102
; %bb.101:
	v_cvt_f32_f64_e32 v2, v[0:1]
	s_movk_i32 s0, 0x7fff
	v_mov_b32_e32 v3, 0x7fc0
	s_mov_b64 s[6:7], -1
	v_bfe_u32 v6, v2, 16, 1
	v_cmp_o_f32_e32 vcc, v2, v2
	v_add3_u32 v2, v2, v6, s0
	v_cndmask_b32_sdwa v2, v3, v2, vcc dst_sel:DWORD dst_unused:UNUSED_PAD src0_sel:DWORD src1_sel:WORD_1
	global_store_short v[4:5], v2, off
	s_mov_b64 s[0:1], 0
.LBB8_102:
	s_mov_b64 s[18:19], 0
.LBB8_103:
	s_and_b64 vcc, exec, s[18:19]
	s_cbranch_vccz .LBB8_106
; %bb.104:
	s_cmp_eq_u32 s25, 11
	s_mov_b64 s[0:1], -1
	s_cbranch_scc0 .LBB8_106
; %bb.105:
	v_cmp_neq_f64_e32 vcc, 0, v[0:1]
	s_mov_b64 s[0:1], 0
	s_mov_b64 s[6:7], -1
	v_cndmask_b32_e64 v2, 0, 1, vcc
	global_store_byte v[4:5], v2, off
.LBB8_106:
	s_branch .LBB8_24
.LBB8_107:
	s_and_b32 s18, 0xffff, s24
	s_cmp_lt_i32 s18, 5
	s_mov_b64 s[6:7], -1
	s_cbranch_scc1 .LBB8_128
; %bb.108:
	s_cmp_lt_i32 s18, 8
	s_cbranch_scc1 .LBB8_118
; %bb.109:
	s_cmp_lt_i32 s18, 9
	s_cbranch_scc1 .LBB8_115
; %bb.110:
	s_cmp_gt_i32 s18, 9
	s_cbranch_scc0 .LBB8_112
; %bb.111:
	v_mov_b32_e32 v2, 0
	v_mov_b32_e32 v3, v2
	global_store_dwordx4 v[4:5], v[0:3], off
	s_mov_b64 s[6:7], 0
.LBB8_112:
	s_andn2_b64 vcc, exec, s[6:7]
	s_cbranch_vccnz .LBB8_114
; %bb.113:
	v_cvt_f32_f64_e32 v2, v[0:1]
	v_mov_b32_e32 v3, 0
	global_store_dwordx2 v[4:5], v[2:3], off
.LBB8_114:
	s_mov_b64 s[6:7], 0
.LBB8_115:
	s_andn2_b64 vcc, exec, s[6:7]
	s_cbranch_vccnz .LBB8_117
; %bb.116:
	s_movk_i32 s6, 0x1ff
	v_and_or_b32 v2, v1, s6, v0
	v_cmp_ne_u32_e32 vcc, 0, v2
	v_cndmask_b32_e64 v2, 0, 1, vcc
	v_lshrrev_b32_e32 v3, 8, v1
	s_movk_i32 s6, 0xffe
	v_bfe_u32 v6, v1, 20, 11
	v_and_or_b32 v2, v3, s6, v2
	v_sub_u32_e32 v7, 0x3f1, v6
	v_or_b32_e32 v3, 0x1000, v2
	v_med3_i32 v7, v7, 0, 13
	v_lshrrev_b32_e32 v8, v7, v3
	v_lshlrev_b32_e32 v7, v7, v8
	v_cmp_ne_u32_e32 vcc, v7, v3
	v_cndmask_b32_e64 v3, 0, 1, vcc
	v_add_u32_e32 v6, 0xfffffc10, v6
	v_or_b32_e32 v3, v8, v3
	v_lshl_or_b32 v7, v6, 12, v2
	v_cmp_gt_i32_e32 vcc, 1, v6
	v_cndmask_b32_e32 v3, v7, v3, vcc
	v_and_b32_e32 v7, 7, v3
	v_cmp_lt_i32_e32 vcc, 5, v7
	v_cndmask_b32_e64 v8, 0, 1, vcc
	v_cmp_eq_u32_e32 vcc, 3, v7
	v_cndmask_b32_e64 v7, 0, 1, vcc
	v_or_b32_e32 v7, v7, v8
	v_lshrrev_b32_e32 v3, 2, v3
	v_add_u32_e32 v3, v3, v7
	v_mov_b32_e32 v7, 0x7c00
	v_cmp_gt_i32_e32 vcc, 31, v6
	v_cndmask_b32_e32 v3, v7, v3, vcc
	v_mov_b32_e32 v8, 0x7e00
	v_cmp_ne_u32_e32 vcc, 0, v2
	s_movk_i32 s6, 0x40f
	v_cndmask_b32_e32 v2, v7, v8, vcc
	v_cmp_eq_u32_e32 vcc, s6, v6
	v_cndmask_b32_e32 v2, v3, v2, vcc
	v_lshrrev_b32_e32 v3, 16, v1
	s_mov_b32 s6, 0x8000
	v_and_or_b32 v2, v3, s6, v2
	v_and_b32_e32 v2, 0xffff, v2
	global_store_dword v[4:5], v2, off
.LBB8_117:
	s_mov_b64 s[6:7], 0
.LBB8_118:
	s_andn2_b64 vcc, exec, s[6:7]
	s_cbranch_vccnz .LBB8_127
; %bb.119:
	s_cmp_lt_i32 s18, 6
	s_mov_b64 s[6:7], -1
	s_cbranch_scc1 .LBB8_125
; %bb.120:
	s_cmp_gt_i32 s18, 6
	s_cbranch_scc0 .LBB8_122
; %bb.121:
	global_store_dwordx2 v[4:5], v[0:1], off
	s_mov_b64 s[6:7], 0
.LBB8_122:
	s_andn2_b64 vcc, exec, s[6:7]
	s_cbranch_vccnz .LBB8_124
; %bb.123:
	v_cvt_f32_f64_e32 v2, v[0:1]
	global_store_dword v[4:5], v2, off
.LBB8_124:
	s_mov_b64 s[6:7], 0
.LBB8_125:
	s_andn2_b64 vcc, exec, s[6:7]
	s_cbranch_vccnz .LBB8_127
; %bb.126:
	s_movk_i32 s6, 0x1ff
	v_and_or_b32 v2, v1, s6, v0
	v_cmp_ne_u32_e32 vcc, 0, v2
	v_cndmask_b32_e64 v2, 0, 1, vcc
	v_lshrrev_b32_e32 v3, 8, v1
	s_movk_i32 s6, 0xffe
	v_bfe_u32 v6, v1, 20, 11
	v_and_or_b32 v2, v3, s6, v2
	v_sub_u32_e32 v7, 0x3f1, v6
	v_or_b32_e32 v3, 0x1000, v2
	v_med3_i32 v7, v7, 0, 13
	v_lshrrev_b32_e32 v8, v7, v3
	v_lshlrev_b32_e32 v7, v7, v8
	v_cmp_ne_u32_e32 vcc, v7, v3
	v_cndmask_b32_e64 v3, 0, 1, vcc
	v_add_u32_e32 v6, 0xfffffc10, v6
	v_or_b32_e32 v3, v8, v3
	v_lshl_or_b32 v7, v6, 12, v2
	v_cmp_gt_i32_e32 vcc, 1, v6
	v_cndmask_b32_e32 v3, v7, v3, vcc
	v_and_b32_e32 v7, 7, v3
	v_cmp_lt_i32_e32 vcc, 5, v7
	v_cndmask_b32_e64 v8, 0, 1, vcc
	v_cmp_eq_u32_e32 vcc, 3, v7
	v_cndmask_b32_e64 v7, 0, 1, vcc
	v_or_b32_e32 v7, v7, v8
	v_lshrrev_b32_e32 v3, 2, v3
	v_add_u32_e32 v3, v3, v7
	v_mov_b32_e32 v7, 0x7c00
	v_cmp_gt_i32_e32 vcc, 31, v6
	v_cndmask_b32_e32 v3, v7, v3, vcc
	v_mov_b32_e32 v8, 0x7e00
	v_cmp_ne_u32_e32 vcc, 0, v2
	s_movk_i32 s6, 0x40f
	v_cndmask_b32_e32 v2, v7, v8, vcc
	v_cmp_eq_u32_e32 vcc, s6, v6
	v_cndmask_b32_e32 v2, v3, v2, vcc
	v_lshrrev_b32_e32 v3, 16, v1
	s_mov_b32 s6, 0x8000
	v_and_or_b32 v2, v3, s6, v2
	global_store_short v[4:5], v2, off
.LBB8_127:
	s_mov_b64 s[6:7], 0
.LBB8_128:
	s_andn2_b64 vcc, exec, s[6:7]
	s_cbranch_vccnz .LBB8_144
; %bb.129:
	s_cmp_lt_i32 s18, 2
	s_mov_b64 s[6:7], -1
	s_cbranch_scc1 .LBB8_139
; %bb.130:
	s_cmp_lt_i32 s18, 3
	s_cbranch_scc1 .LBB8_136
; %bb.131:
	s_cmp_gt_i32 s18, 3
	s_cbranch_scc0 .LBB8_133
; %bb.132:
	v_trunc_f64_e32 v[2:3], v[0:1]
	s_movk_i32 s6, 0xffe0
	v_ldexp_f64 v[6:7], v[2:3], s6
	s_mov_b32 s6, 0
	s_mov_b32 s7, 0xc1f00000
	v_floor_f64_e32 v[6:7], v[6:7]
	v_fma_f64 v[2:3], v[6:7], s[6:7], v[2:3]
	v_cvt_i32_f64_e32 v7, v[6:7]
	s_mov_b64 s[6:7], 0
	v_cvt_u32_f64_e32 v6, v[2:3]
	global_store_dwordx2 v[4:5], v[6:7], off
.LBB8_133:
	s_andn2_b64 vcc, exec, s[6:7]
	s_cbranch_vccnz .LBB8_135
; %bb.134:
	v_cvt_i32_f64_e32 v2, v[0:1]
	global_store_dword v[4:5], v2, off
.LBB8_135:
	s_mov_b64 s[6:7], 0
.LBB8_136:
	s_andn2_b64 vcc, exec, s[6:7]
	s_cbranch_vccnz .LBB8_138
; %bb.137:
	v_cvt_i32_f64_e32 v2, v[0:1]
	global_store_short v[4:5], v2, off
.LBB8_138:
	s_mov_b64 s[6:7], 0
.LBB8_139:
	s_andn2_b64 vcc, exec, s[6:7]
	s_cbranch_vccnz .LBB8_144
; %bb.140:
	s_cmp_gt_i32 s18, 0
	s_mov_b64 s[6:7], -1
	s_cbranch_scc0 .LBB8_142
; %bb.141:
	v_cvt_i32_f64_e32 v2, v[0:1]
	s_mov_b64 s[6:7], 0
	global_store_byte v[4:5], v2, off
.LBB8_142:
	s_andn2_b64 vcc, exec, s[6:7]
	s_cbranch_vccnz .LBB8_144
; %bb.143:
	v_trunc_f64_e32 v[0:1], v[0:1]
	s_movk_i32 s6, 0xffe0
	v_ldexp_f64 v[2:3], v[0:1], s6
	s_mov_b32 s6, 0
	s_mov_b32 s7, 0xc1f00000
	v_floor_f64_e32 v[2:3], v[2:3]
	v_fma_f64 v[0:1], v[2:3], s[6:7], v[0:1]
	v_cvt_u32_f64_e32 v0, v[0:1]
	global_store_byte v[4:5], v0, off
.LBB8_144:
	s_branch .LBB8_25
.LBB8_145:
	s_mov_b64 s[18:19], 0
                                        ; implicit-def: $vgpr14
	s_branch .LBB8_255
.LBB8_146:
	s_mov_b64 s[14:15], -1
                                        ; implicit-def: $vgpr2_vgpr3
.LBB8_147:
	s_mov_b64 s[6:7], 0
.LBB8_148:
	s_and_b64 vcc, exec, s[6:7]
	s_cbranch_vccz .LBB8_152
; %bb.149:
	s_cmp_eq_u32 s22, 29
	s_cbranch_scc0 .LBB8_151
; %bb.150:
	global_load_dwordx2 v[2:3], v[0:1], off
	s_mov_b64 s[0:1], -1
	s_mov_b64 s[14:15], 0
	s_mov_b64 s[6:7], 0
	s_waitcnt vmcnt(0)
	v_cvt_f64_u32_e32 v[3:4], v3
	v_cvt_f64_u32_e32 v[5:6], v2
	v_ldexp_f64 v[3:4], v[3:4], 32
	v_add_f64 v[2:3], v[3:4], v[5:6]
	s_branch .LBB8_153
.LBB8_151:
	s_mov_b64 s[14:15], -1
                                        ; implicit-def: $vgpr2_vgpr3
.LBB8_152:
	s_mov_b64 s[6:7], 0
.LBB8_153:
	s_and_b64 vcc, exec, s[6:7]
	s_cbranch_vccz .LBB8_173
; %bb.154:
	s_cmp_lt_i32 s22, 27
	s_cbranch_scc1 .LBB8_157
; %bb.155:
	s_cmp_gt_i32 s22, 27
	s_cbranch_scc0 .LBB8_158
; %bb.156:
	global_load_dword v2, v[0:1], off
	s_mov_b64 s[0:1], 0
	s_waitcnt vmcnt(0)
	v_cvt_f64_u32_e32 v[2:3], v2
	s_branch .LBB8_159
.LBB8_157:
	s_mov_b64 s[0:1], -1
                                        ; implicit-def: $vgpr2_vgpr3
	s_branch .LBB8_162
.LBB8_158:
	s_mov_b64 s[0:1], -1
                                        ; implicit-def: $vgpr2_vgpr3
.LBB8_159:
	s_andn2_b64 vcc, exec, s[0:1]
	s_cbranch_vccnz .LBB8_161
; %bb.160:
	global_load_ushort v2, v[0:1], off
	s_waitcnt vmcnt(0)
	v_cvt_f64_u32_e32 v[2:3], v2
.LBB8_161:
	s_mov_b64 s[0:1], 0
.LBB8_162:
	s_andn2_b64 vcc, exec, s[0:1]
	s_cbranch_vccnz .LBB8_172
; %bb.163:
	global_load_ubyte v4, v[0:1], off
	s_movk_i32 s0, 0x7f
	s_waitcnt vmcnt(0)
	v_cmp_lt_i16_e32 vcc, s0, v4
	s_mov_b64 s[0:1], 0
	s_and_saveexec_b64 s[6:7], vcc
	s_xor_b64 s[6:7], exec, s[6:7]
	s_cbranch_execz .LBB8_167
; %bb.164:
	s_movk_i32 s0, 0x80
	v_cmp_eq_u16_e32 vcc, s0, v4
	s_mov_b64 s[0:1], -1
	s_and_saveexec_b64 s[18:19], vcc
; %bb.165:
	s_xor_b64 s[0:1], exec, -1
; %bb.166:
	s_or_b64 exec, exec, s[18:19]
	s_and_b64 s[0:1], s[0:1], exec
.LBB8_167:
	s_or_saveexec_b64 s[6:7], s[6:7]
	v_bfrev_b32_e32 v2, 4
	v_mov_b32_e32 v3, 0x7ff80000
	s_xor_b64 exec, exec, s[6:7]
; %bb.168:
	v_cmp_ne_u16_e32 vcc, 0, v4
	v_mov_b32_e32 v2, 0
	s_andn2_b64 s[0:1], s[0:1], exec
	s_and_b64 s[18:19], vcc, exec
	v_mov_b32_e32 v3, 0
	s_or_b64 s[0:1], s[0:1], s[18:19]
; %bb.169:
	s_or_b64 exec, exec, s[6:7]
	s_and_saveexec_b64 s[6:7], s[0:1]
	s_cbranch_execz .LBB8_171
; %bb.170:
	v_and_b32_e32 v3, 0xffff, v4
	v_lshlrev_b32_e32 v2, 24, v4
	v_and_b32_e32 v4, 7, v3
	v_ffbh_u32_e32 v6, v4
	v_min_u32_e32 v6, 32, v6
	v_subrev_u32_e32 v7, 28, v6
	v_bfe_u32 v5, v3, 3, 4
	v_lshlrev_b32_e32 v3, v7, v3
	v_sub_u32_e32 v6, 29, v6
	v_and_b32_e32 v3, 7, v3
	v_cmp_eq_u32_e32 vcc, 0, v5
	v_cndmask_b32_e32 v5, v5, v6, vcc
	v_cndmask_b32_e32 v3, v4, v3, vcc
	v_mov_b32_e32 v4, 0x3b800000
	v_lshlrev_b32_e32 v3, 20, v3
	v_and_b32_e32 v2, 0x80000000, v2
	v_lshl_add_u32 v4, v5, 23, v4
	v_or3_b32 v2, v2, v4, v3
	v_cvt_f64_f32_e32 v[2:3], v2
.LBB8_171:
	s_or_b64 exec, exec, s[6:7]
.LBB8_172:
	s_mov_b64 s[0:1], -1
.LBB8_173:
	s_branch .LBB8_206
.LBB8_174:
	s_cmp_gt_i32 s22, 22
	s_cbranch_scc0 .LBB8_186
; %bb.175:
	s_cmp_lt_i32 s22, 24
	s_cbranch_scc1 .LBB8_187
; %bb.176:
	s_cmp_gt_i32 s22, 24
	s_cbranch_scc0 .LBB8_188
; %bb.177:
	global_load_ubyte v4, v[0:1], off
	s_movk_i32 s0, 0x7f
	s_waitcnt vmcnt(0)
	v_cmp_lt_i16_e32 vcc, s0, v4
	s_mov_b64 s[0:1], 0
	s_and_saveexec_b64 s[6:7], vcc
	s_xor_b64 s[6:7], exec, s[6:7]
	s_cbranch_execz .LBB8_181
; %bb.178:
	s_movk_i32 s0, 0x80
	v_cmp_eq_u16_e32 vcc, s0, v4
	s_mov_b64 s[0:1], -1
	s_and_saveexec_b64 s[18:19], vcc
; %bb.179:
	s_xor_b64 s[0:1], exec, -1
; %bb.180:
	s_or_b64 exec, exec, s[18:19]
	s_and_b64 s[0:1], s[0:1], exec
.LBB8_181:
	s_or_saveexec_b64 s[6:7], s[6:7]
	v_bfrev_b32_e32 v2, 4
	v_mov_b32_e32 v3, 0x7ff80000
	s_xor_b64 exec, exec, s[6:7]
; %bb.182:
	v_cmp_ne_u16_e32 vcc, 0, v4
	v_mov_b32_e32 v2, 0
	s_andn2_b64 s[0:1], s[0:1], exec
	s_and_b64 s[18:19], vcc, exec
	v_mov_b32_e32 v3, 0
	s_or_b64 s[0:1], s[0:1], s[18:19]
; %bb.183:
	s_or_b64 exec, exec, s[6:7]
	s_and_saveexec_b64 s[6:7], s[0:1]
	s_cbranch_execz .LBB8_185
; %bb.184:
	v_and_b32_e32 v3, 0xffff, v4
	v_lshlrev_b32_e32 v2, 24, v4
	v_and_b32_e32 v4, 3, v3
	v_ffbh_u32_e32 v6, v4
	v_min_u32_e32 v6, 32, v6
	v_subrev_u32_e32 v7, 29, v6
	v_bfe_u32 v5, v3, 2, 5
	v_lshlrev_b32_e32 v3, v7, v3
	v_sub_u32_e32 v6, 30, v6
	v_and_b32_e32 v3, 3, v3
	v_cmp_eq_u32_e32 vcc, 0, v5
	v_cndmask_b32_e32 v5, v5, v6, vcc
	v_cndmask_b32_e32 v3, v4, v3, vcc
	v_mov_b32_e32 v4, 0x37800000
	v_lshlrev_b32_e32 v3, 21, v3
	v_and_b32_e32 v2, 0x80000000, v2
	v_lshl_add_u32 v4, v5, 23, v4
	v_or3_b32 v2, v2, v4, v3
	v_cvt_f64_f32_e32 v[2:3], v2
.LBB8_185:
	s_or_b64 exec, exec, s[6:7]
	s_mov_b64 s[0:1], 0
	s_branch .LBB8_189
.LBB8_186:
	s_mov_b64 s[6:7], -1
                                        ; implicit-def: $vgpr2_vgpr3
	s_branch .LBB8_195
.LBB8_187:
	s_mov_b64 s[0:1], -1
                                        ; implicit-def: $vgpr2_vgpr3
	s_branch .LBB8_192
.LBB8_188:
	s_mov_b64 s[0:1], -1
                                        ; implicit-def: $vgpr2_vgpr3
.LBB8_189:
	s_and_b64 vcc, exec, s[0:1]
	s_cbranch_vccz .LBB8_191
; %bb.190:
	global_load_ubyte v2, v[0:1], off
	s_mov_b32 s0, 0x7f800000
	s_waitcnt vmcnt(0)
	v_lshlrev_b32_e32 v2, 24, v2
	v_and_b32_e32 v3, 0x7f000000, v2
	v_ffbh_u32_e32 v4, v3
	v_min_u32_e32 v4, 32, v4
	v_sub_u32_e64 v4, v4, 4 clamp
	v_lshlrev_b32_e32 v6, v4, v3
	v_lshlrev_b32_e32 v4, 23, v4
	v_lshrrev_b32_e32 v6, 4, v6
	v_add_u32_e32 v5, 0x1000000, v3
	v_sub_u32_e32 v4, v6, v4
	v_ashrrev_i32_e32 v5, 8, v5
	v_add_u32_e32 v4, 0x3c000000, v4
	v_and_or_b32 v4, v5, s0, v4
	v_cmp_ne_u32_e32 vcc, 0, v3
	v_cndmask_b32_e32 v3, 0, v4, vcc
	s_brev_b32 s0, 1
	v_and_or_b32 v2, v2, s0, v3
	v_cvt_f64_f32_e32 v[2:3], v2
.LBB8_191:
	s_mov_b64 s[0:1], 0
.LBB8_192:
	s_andn2_b64 vcc, exec, s[0:1]
	s_cbranch_vccnz .LBB8_194
; %bb.193:
	global_load_ubyte v2, v[0:1], off
	s_movk_i32 s0, 0x7f00
	s_brev_b32 s1, 16
	s_waitcnt vmcnt(0)
	v_lshlrev_b16_e32 v3, 8, v2
	v_lshlrev_b32_e32 v2, 25, v2
	v_lshrrev_b32_e32 v4, 4, v2
	v_and_or_b32 v5, v3, s0, 0.5
	v_or_b32_e32 v4, 0x70000000, v4
	v_add_f32_e32 v5, -0.5, v5
	v_mul_f32_e32 v4, 0x7800000, v4
	v_cmp_gt_u32_e32 vcc, s1, v2
	v_bfe_i32 v3, v3, 0, 16
	v_cndmask_b32_e32 v2, v4, v5, vcc
	s_brev_b32 s0, 1
	v_and_or_b32 v2, v3, s0, v2
	v_cvt_f64_f32_e32 v[2:3], v2
.LBB8_194:
	s_mov_b64 s[6:7], 0
	s_mov_b64 s[0:1], -1
.LBB8_195:
	s_andn2_b64 vcc, exec, s[6:7]
	s_cbranch_vccnz .LBB8_206
; %bb.196:
	s_cmp_gt_i32 s22, 14
	s_cbranch_scc0 .LBB8_199
; %bb.197:
	s_cmp_eq_u32 s22, 15
	s_cbranch_scc0 .LBB8_200
; %bb.198:
	global_load_ushort v2, v[0:1], off
	s_mov_b64 s[0:1], -1
	s_mov_b64 s[14:15], 0
	s_waitcnt vmcnt(0)
	v_lshlrev_b32_e32 v2, 16, v2
	v_cvt_f64_f32_e32 v[2:3], v2
	s_branch .LBB8_201
.LBB8_199:
	s_mov_b64 s[6:7], -1
                                        ; implicit-def: $vgpr2_vgpr3
	s_branch .LBB8_202
.LBB8_200:
	s_mov_b64 s[14:15], -1
                                        ; implicit-def: $vgpr2_vgpr3
.LBB8_201:
	s_mov_b64 s[6:7], 0
.LBB8_202:
	s_and_b64 vcc, exec, s[6:7]
	s_cbranch_vccz .LBB8_206
; %bb.203:
	s_cmp_eq_u32 s22, 11
	s_cbranch_scc0 .LBB8_205
; %bb.204:
	global_load_ubyte v3, v[0:1], off
	v_mov_b32_e32 v4, 0x3ff00000
	v_mov_b32_e32 v2, 0
	s_mov_b64 s[0:1], -1
	s_mov_b64 s[14:15], 0
	s_waitcnt vmcnt(0)
	v_cmp_ne_u16_e32 vcc, 0, v3
	v_cndmask_b32_e32 v3, 0, v4, vcc
	s_branch .LBB8_206
.LBB8_205:
	s_mov_b64 s[14:15], -1
                                        ; implicit-def: $vgpr2_vgpr3
.LBB8_206:
	s_branch .LBB8_10
.LBB8_207:
	s_cmp_lt_i32 s22, 5
	s_cbranch_scc1 .LBB8_212
; %bb.208:
	s_cmp_lt_i32 s22, 8
	s_cbranch_scc1 .LBB8_213
; %bb.209:
	;; [unrolled: 3-line block ×3, first 2 shown]
	s_cmp_gt_i32 s22, 9
	s_cbranch_scc0 .LBB8_215
; %bb.211:
	global_load_dwordx2 v[2:3], v[0:1], off
	s_mov_b64 s[0:1], 0
	s_branch .LBB8_216
.LBB8_212:
                                        ; implicit-def: $vgpr2_vgpr3
	s_branch .LBB8_234
.LBB8_213:
	s_mov_b64 s[0:1], -1
                                        ; implicit-def: $vgpr2_vgpr3
	s_branch .LBB8_222
.LBB8_214:
	s_mov_b64 s[0:1], -1
                                        ; implicit-def: $vgpr2_vgpr3
	s_branch .LBB8_219
.LBB8_215:
	s_mov_b64 s[0:1], -1
                                        ; implicit-def: $vgpr2_vgpr3
.LBB8_216:
	s_andn2_b64 vcc, exec, s[0:1]
	s_cbranch_vccnz .LBB8_218
; %bb.217:
	global_load_dword v2, v[0:1], off
	s_waitcnt vmcnt(0)
	v_cvt_f64_f32_e32 v[2:3], v2
.LBB8_218:
	s_mov_b64 s[0:1], 0
.LBB8_219:
	s_andn2_b64 vcc, exec, s[0:1]
	s_cbranch_vccnz .LBB8_221
; %bb.220:
	global_load_dword v2, v[0:1], off
	s_waitcnt vmcnt(0)
	v_cvt_f32_f16_e32 v2, v2
	v_cvt_f64_f32_e32 v[2:3], v2
.LBB8_221:
	s_mov_b64 s[0:1], 0
.LBB8_222:
	s_andn2_b64 vcc, exec, s[0:1]
	s_cbranch_vccnz .LBB8_233
; %bb.223:
	s_cmp_lt_i32 s22, 6
	s_cbranch_scc1 .LBB8_226
; %bb.224:
	s_cmp_gt_i32 s22, 6
	s_cbranch_scc0 .LBB8_227
; %bb.225:
	global_load_dwordx2 v[2:3], v[0:1], off
	s_mov_b64 s[0:1], 0
	s_branch .LBB8_228
.LBB8_226:
	s_mov_b64 s[0:1], -1
                                        ; implicit-def: $vgpr2_vgpr3
	s_branch .LBB8_231
.LBB8_227:
	s_mov_b64 s[0:1], -1
                                        ; implicit-def: $vgpr2_vgpr3
.LBB8_228:
	s_andn2_b64 vcc, exec, s[0:1]
	s_cbranch_vccnz .LBB8_230
; %bb.229:
	global_load_dword v2, v[0:1], off
	s_waitcnt vmcnt(0)
	v_cvt_f64_f32_e32 v[2:3], v2
.LBB8_230:
	s_mov_b64 s[0:1], 0
.LBB8_231:
	s_andn2_b64 vcc, exec, s[0:1]
	s_cbranch_vccnz .LBB8_233
; %bb.232:
	global_load_ushort v2, v[0:1], off
	s_waitcnt vmcnt(0)
	v_cvt_f32_f16_e32 v2, v2
	v_cvt_f64_f32_e32 v[2:3], v2
.LBB8_233:
	s_cbranch_execnz .LBB8_253
.LBB8_234:
	s_cmp_lt_i32 s22, 2
	s_cbranch_scc1 .LBB8_238
; %bb.235:
	s_cmp_lt_i32 s22, 3
	s_cbranch_scc1 .LBB8_239
; %bb.236:
	s_cmp_gt_i32 s22, 3
	s_cbranch_scc0 .LBB8_240
; %bb.237:
	global_load_dwordx2 v[2:3], v[0:1], off
	s_mov_b64 s[0:1], 0
	s_waitcnt vmcnt(0)
	v_cvt_f64_i32_e32 v[3:4], v3
	v_cvt_f64_u32_e32 v[5:6], v2
	v_ldexp_f64 v[3:4], v[3:4], 32
	v_add_f64 v[2:3], v[3:4], v[5:6]
	s_branch .LBB8_241
.LBB8_238:
	s_mov_b64 s[0:1], -1
                                        ; implicit-def: $vgpr2_vgpr3
	s_branch .LBB8_247
.LBB8_239:
	s_mov_b64 s[0:1], -1
                                        ; implicit-def: $vgpr2_vgpr3
	s_branch .LBB8_244
.LBB8_240:
	s_mov_b64 s[0:1], -1
                                        ; implicit-def: $vgpr2_vgpr3
.LBB8_241:
	s_andn2_b64 vcc, exec, s[0:1]
	s_cbranch_vccnz .LBB8_243
; %bb.242:
	global_load_dword v2, v[0:1], off
	s_waitcnt vmcnt(0)
	v_cvt_f64_i32_e32 v[2:3], v2
.LBB8_243:
	s_mov_b64 s[0:1], 0
.LBB8_244:
	s_andn2_b64 vcc, exec, s[0:1]
	s_cbranch_vccnz .LBB8_246
; %bb.245:
	global_load_sshort v2, v[0:1], off
	s_waitcnt vmcnt(0)
	v_cvt_f64_i32_e32 v[2:3], v2
.LBB8_246:
	s_mov_b64 s[0:1], 0
.LBB8_247:
	s_andn2_b64 vcc, exec, s[0:1]
	s_cbranch_vccnz .LBB8_253
; %bb.248:
	s_cmp_gt_i32 s22, 0
	s_cbranch_scc0 .LBB8_250
; %bb.249:
	global_load_sbyte v2, v[0:1], off
	s_mov_b64 s[0:1], 0
	s_waitcnt vmcnt(0)
	v_cvt_f64_i32_e32 v[2:3], v2
	s_branch .LBB8_251
.LBB8_250:
	s_mov_b64 s[0:1], -1
                                        ; implicit-def: $vgpr2_vgpr3
.LBB8_251:
	s_andn2_b64 vcc, exec, s[0:1]
	s_cbranch_vccnz .LBB8_253
; %bb.252:
	global_load_ubyte v0, v[0:1], off
	s_waitcnt vmcnt(0)
	v_cvt_f64_u32_e32 v[2:3], v0
.LBB8_253:
	s_branch .LBB8_11
.LBB8_254:
	s_mov_b64 s[0:1], 0
                                        ; implicit-def: $vgpr14
	s_mov_b64 s[18:19], 0
.LBB8_255:
	s_and_b64 s[6:7], s[0:1], exec
	s_and_b64 s[14:15], s[14:15], exec
	s_orn2_b64 s[18:19], s[18:19], exec
.LBB8_256:
	s_or_b64 exec, exec, s[16:17]
	s_mov_b64 s[22:23], 0
	s_mov_b64 s[0:1], 0
                                        ; implicit-def: $vgpr0_vgpr1
                                        ; implicit-def: $vgpr2_vgpr3
	s_and_saveexec_b64 s[16:17], s[18:19]
	s_cbranch_execz .LBB8_265
; %bb.257:
	v_cmp_gt_i32_e32 vcc, s38, v14
	s_mov_b64 s[0:1], -1
	s_mov_b64 s[18:19], s[14:15]
	s_mov_b64 s[20:21], s[6:7]
	s_and_saveexec_b64 s[22:23], vcc
	s_cbranch_execz .LBB8_521
; %bb.258:
	v_mul_lo_u32 v0, v14, s3
	v_mov_b32_e32 v1, s11
	s_and_b32 s26, 0xffff, s42
	s_cmp_lt_i32 s26, 11
	s_waitcnt vmcnt(0)
	v_ashrrev_i32_e32 v2, 31, v0
	v_add_co_u32_e32 v0, vcc, s10, v0
	v_addc_co_u32_e32 v1, vcc, v1, v2, vcc
	s_cbranch_scc1 .LBB8_268
; %bb.259:
	s_cmp_gt_i32 s26, 25
	s_cbranch_scc0 .LBB8_281
; %bb.260:
	s_cmp_gt_i32 s26, 28
	s_cbranch_scc0 .LBB8_283
	;; [unrolled: 3-line block ×4, first 2 shown]
; %bb.263:
	s_cmp_eq_u32 s26, 46
	s_mov_b64 s[20:21], 0
	s_cbranch_scc0 .LBB8_293
; %bb.264:
	global_load_dword v2, v[0:1], off
	s_mov_b64 s[18:19], 0
	s_waitcnt vmcnt(0)
	v_lshlrev_b32_e32 v2, 16, v2
	v_cvt_f64_f32_e32 v[2:3], v2
	s_branch .LBB8_294
.LBB8_265:
	s_or_b64 exec, exec, s[16:17]
	s_mov_b64 s[16:17], 0
	s_and_saveexec_b64 s[18:19], s[14:15]
	s_cbranch_execnz .LBB8_871
.LBB8_266:
	s_or_b64 exec, exec, s[18:19]
	s_and_saveexec_b64 s[14:15], s[20:21]
	s_xor_b64 s[14:15], exec, s[14:15]
	s_cbranch_execz .LBB8_872
.LBB8_267:
	global_load_ubyte v3, v[0:1], off
	v_mov_b32_e32 v4, 0x3ff00000
	s_waitcnt vmcnt(1)
	v_mov_b32_e32 v2, 0
	s_or_b64 s[0:1], s[0:1], exec
	s_waitcnt vmcnt(0)
	v_cmp_ne_u16_e32 vcc, 0, v3
	v_cndmask_b32_e32 v3, 0, v4, vcc
	s_or_b64 exec, exec, s[14:15]
	s_and_saveexec_b64 s[14:15], s[22:23]
	s_cbranch_execz .LBB8_918
	s_branch .LBB8_873
.LBB8_268:
	s_mov_b64 s[0:1], 0
                                        ; implicit-def: $vgpr2_vgpr3
	s_mov_b64 s[18:19], s[14:15]
	s_cbranch_execnz .LBB8_471
.LBB8_269:
	s_andn2_b64 vcc, exec, s[0:1]
	s_cbranch_vccnz .LBB8_519
.LBB8_270:
	s_mov_b32 s0, 0
	s_mov_b32 s1, 0x40200000
	s_waitcnt vmcnt(0)
	v_cmp_le_f64_e64 s[0:1], |v[2:3]|, s[0:1]
                                        ; implicit-def: $vgpr0_vgpr1
	s_and_saveexec_b64 s[20:21], s[0:1]
	s_xor_b64 s[0:1], exec, s[20:21]
	s_cbranch_execz .LBB8_272
; %bb.271:
	v_fma_f64 v[0:1], |v[2:3]|, 0.5, -2.0
	v_mov_b32_e32 v4, 0x977da589
	v_mov_b32_e32 v5, 0x3c833362
	s_mov_b32 s21, 0xbc545cb7
	s_mov_b32 s20, 0x2134d0ef
	;; [unrolled: 1-line block ×4, first 2 shown]
	v_mov_b32_e32 v10, 0xfca7ab0c
	v_fma_f64 v[4:5], v[0:1], s[20:21], v[4:5]
	s_mov_b32 s21, 0x3c545cb7
	v_mov_b32_e32 v11, 0x3e928af3
	v_fma_f64 v[6:7], v[0:1], v[4:5], s[20:21]
	s_mov_b32 s20, 0x721ebbb4
	s_mov_b32 s21, 0xbcb184eb
	v_add_f64 v[6:7], v[6:7], s[20:21]
	s_mov_b32 s20, 0x93f65eba
	s_mov_b32 s21, 0x3cdee6d8
	v_fma_f64 v[4:5], v[0:1], v[6:7], -v[4:5]
	v_add_f64 v[4:5], v[4:5], s[20:21]
	s_mov_b32 s20, 0xc297fbeb
	s_mov_b32 s21, 0xbd0a5022
	v_fma_f64 v[6:7], v[0:1], v[4:5], -v[6:7]
	;; [unrolled: 4-line block ×20, first 2 shown]
	v_add_f64 v[6:7], v[6:7], s[20:21]
	s_mov_b32 s20, 0x652b82fe
	s_mov_b32 s21, 0x3ff71547
	v_mul_f64 v[8:9], |v[2:3]|, s[20:21]
	s_mov_b32 s20, 0xf3dde3dd
	s_mov_b32 s21, 0x3f859961
	v_fma_f64 v[4:5], v[0:1], v[6:7], -v[4:5]
	v_rndne_f64_e32 v[8:9], v[8:9]
	v_add_f64 v[4:5], v[4:5], s[20:21]
	s_mov_b32 s20, 0xfefa39ef
	s_mov_b32 s21, 0xbfe62e42
	v_fma_f64 v[2:3], v[8:9], s[20:21], |v[2:3]|
	s_mov_b32 s20, 0xf121b6f0
	s_mov_b32 s21, 0xbf984e9e
	v_fma_f64 v[6:7], v[0:1], v[4:5], -v[6:7]
	v_fma_f64 v[2:3], v[8:9], s[24:25], v[2:3]
	s_mov_b32 s24, 0x623fde64
	s_mov_b32 s25, 0x3ec71dee
	v_add_f64 v[6:7], v[6:7], s[20:21]
	s_mov_b32 s20, 0x6a5dcb37
	s_mov_b32 s21, 0x3e5ade15
	v_fma_f64 v[10:11], v[2:3], s[20:21], v[10:11]
	s_mov_b32 s20, 0xcea8a32d
	s_mov_b32 s21, 0x3fa93e8a
	v_fma_f64 v[4:5], v[0:1], v[6:7], -v[4:5]
	v_fma_f64 v[10:11], v[2:3], v[10:11], s[24:25]
	s_mov_b32 s24, 0x14761f6e
	s_mov_b32 s25, 0x3f2a01a0
	v_add_f64 v[4:5], v[4:5], s[20:21]
	s_mov_b32 s20, 0x7c89e6b0
	s_mov_b32 s21, 0x3efa0199
	v_fma_f64 v[10:11], v[2:3], v[10:11], s[20:21]
	;; [unrolled: 10-line block ×4, first 2 shown]
	s_mov_b32 s20, 0xc057cd8d
	s_mov_b32 s21, 0xbfd37feb
	v_fma_f64 v[6:7], v[0:1], v[4:5], -v[6:7]
	v_fma_f64 v[10:11], v[2:3], v[10:11], s[24:25]
	v_add_f64 v[6:7], v[6:7], s[20:21]
	s_mov_b32 s20, 11
	s_mov_b32 s21, 0x3fe00000
	v_fma_f64 v[10:11], v[2:3], v[10:11], s[20:21]
	s_mov_b32 s20, 0x9035a22a
	s_mov_b32 s21, 0x3fe5a84e
	v_fma_f64 v[0:1], v[0:1], v[6:7], -v[4:5]
	v_fma_f64 v[6:7], v[2:3], v[10:11], 1.0
	v_add_f64 v[0:1], v[0:1], s[20:21]
	v_fma_f64 v[2:3], v[2:3], v[6:7], 1.0
	v_add_f64 v[0:1], v[0:1], -v[4:5]
	v_cvt_i32_f64_e32 v4, v[8:9]
	v_ldexp_f64 v[2:3], v[2:3], v4
	v_mul_f64 v[0:1], v[0:1], 0.5
	v_mul_f64 v[0:1], v[2:3], v[0:1]
                                        ; implicit-def: $vgpr2_vgpr3
.LBB8_272:
	s_andn2_saveexec_b64 s[20:21], s[0:1]
	s_cbranch_execz .LBB8_274
; %bb.273:
	s_mov_b32 s0, 0
	v_and_b32_e32 v1, 0x7fffffff, v3
	v_mov_b32_e32 v0, v2
	s_mov_b32 s1, 0x40400000
	v_div_scale_f64 v[4:5], s[24:25], v[0:1], v[0:1], s[0:1]
	v_div_scale_f64 v[0:1], vcc, s[0:1], v[0:1], s[0:1]
	s_mov_b32 s24, 0x3b39803f
	s_mov_b32 s25, 0xbc7abc9e
	v_mov_b32_e32 v12, 0xfca7ab0c
	v_mov_b32_e32 v13, 0x3e928af3
	s_mov_b32 s26, 0
	s_brev_b32 s27, 8
	v_mov_b32_e32 v15, 0x100
	v_rcp_f64_e32 v[6:7], v[4:5]
	v_fma_f64 v[8:9], -v[4:5], v[6:7], 1.0
	v_fma_f64 v[6:7], v[6:7], v[8:9], v[6:7]
	v_fma_f64 v[8:9], -v[4:5], v[6:7], 1.0
	v_fma_f64 v[6:7], v[6:7], v[8:9], v[6:7]
	v_mul_f64 v[8:9], v[0:1], v[6:7]
	v_fma_f64 v[0:1], -v[4:5], v[8:9], v[0:1]
	v_mov_b32_e32 v4, 0x66119130
	v_mov_b32_e32 v5, 0xbc5646da
	v_div_fmas_f64 v[0:1], v[0:1], v[6:7], v[8:9]
	v_cmp_lt_f64_e64 vcc, |v[2:3]|, s[26:27]
	v_cndmask_b32_e32 v15, 0, v15, vcc
	v_ldexp_f64 v[15:16], |v[2:3]|, v15
	v_div_fixup_f64 v[0:1], v[0:1], |v[2:3]|, s[0:1]
	s_mov_b32 s1, 0xbc60adb7
	s_mov_b32 s0, 0x54ca8b19
	v_rsq_f64_e32 v[17:18], v[15:16]
	v_add_f64 v[0:1], v[0:1], -2.0
	v_fma_f64 v[4:5], v[0:1], s[0:1], v[4:5]
	s_mov_b32 s1, 0x3c60adb7
	v_mul_f64 v[19:20], v[15:16], v[17:18]
	v_mul_f64 v[17:18], v[17:18], 0.5
	v_fma_f64 v[6:7], v[0:1], v[4:5], s[0:1]
	s_mov_b32 s0, 0x12d98421
	s_mov_b32 s1, 0x3c89be18
	v_fma_f64 v[21:22], -v[17:18], v[19:20], 0.5
	v_add_f64 v[6:7], v[6:7], s[0:1]
	s_mov_b32 s0, 0x76041cd
	s_mov_b32 s1, 0x3c83f3dd
	v_fma_f64 v[19:20], v[19:20], v[21:22], v[19:20]
	v_fma_f64 v[17:18], v[17:18], v[21:22], v[17:18]
	v_fma_f64 v[4:5], v[0:1], v[6:7], -v[4:5]
	v_fma_f64 v[21:22], -v[19:20], v[19:20], v[15:16]
	v_add_f64 v[4:5], v[4:5], s[0:1]
	s_mov_b32 s0, 0xabd21fe4
	s_mov_b32 s1, 0xbcb4600b
	v_fma_f64 v[6:7], v[0:1], v[4:5], -v[6:7]
	v_add_f64 v[6:7], v[6:7], s[0:1]
	s_mov_b32 s0, 0xd908de38
	s_mov_b32 s1, 0xbcb8aee7
	v_fma_f64 v[4:5], v[0:1], v[6:7], -v[4:5]
	v_add_f64 v[4:5], v[4:5], s[0:1]
	s_mov_b32 s0, 0xa3eafb1f
	s_mov_b32 s1, 0x3cdfee7d
	v_fma_f64 v[6:7], v[0:1], v[4:5], -v[6:7]
	v_add_f64 v[6:7], v[6:7], s[0:1]
	s_mov_b32 s0, 0x9094e6d7
	s_mov_b32 s1, 0x3cf12a91
	v_fma_f64 v[4:5], v[0:1], v[6:7], -v[4:5]
	v_add_f64 v[4:5], v[4:5], s[0:1]
	s_mov_b32 s0, 0x7e65629a
	s_mov_b32 s1, 0xbd0583fe
	v_fma_f64 v[6:7], v[0:1], v[4:5], -v[6:7]
	v_add_f64 v[6:7], v[6:7], s[0:1]
	s_mov_b32 s0, 0xcf68bb32
	s_mov_b32 s1, 0xbd275d99
	v_fma_f64 v[4:5], v[0:1], v[6:7], -v[4:5]
	v_add_f64 v[4:5], v[4:5], s[0:1]
	s_mov_b32 s0, 0xd5fc545
	s_mov_b32 s1, 0x3d1156ff
	v_fma_f64 v[6:7], v[0:1], v[4:5], -v[6:7]
	v_add_f64 v[6:7], v[6:7], s[0:1]
	s_mov_b32 s0, 0x6b83c073
	s_mov_b32 s1, 0x3d5b1c8c
	v_fma_f64 v[4:5], v[0:1], v[6:7], -v[4:5]
	v_add_f64 v[4:5], v[4:5], s[0:1]
	s_mov_b32 s0, 0xfa268cec
	s_mov_b32 s1, 0x3d694347
	v_fma_f64 v[6:7], v[0:1], v[4:5], -v[6:7]
	v_add_f64 v[6:7], v[6:7], s[0:1]
	s_mov_b32 s0, 0x3178d66
	s_mov_b32 s1, 0xbd7f9043
	v_fma_f64 v[4:5], v[0:1], v[6:7], -v[4:5]
	v_add_f64 v[4:5], v[4:5], s[0:1]
	s_mov_b32 s0, 0x357e7bf2
	s_mov_b32 s1, 0xbdad0fd7
	v_fma_f64 v[6:7], v[0:1], v[4:5], -v[6:7]
	v_add_f64 v[6:7], v[6:7], s[0:1]
	s_mov_b32 s0, 0x8397425
	s_mov_b32 s1, 0xbdc1511d
	v_fma_f64 v[4:5], v[0:1], v[6:7], -v[4:5]
	v_add_f64 v[4:5], v[4:5], s[0:1]
	s_mov_b32 s0, 0xabe8004f
	s_mov_b32 s1, 0x3daa24fe
	v_fma_f64 v[6:7], v[0:1], v[4:5], -v[6:7]
	v_add_f64 v[6:7], v[6:7], s[0:1]
	s_mov_b32 s0, 0xc0f46f75
	s_mov_b32 s1, 0x3e00f9cc
	v_fma_f64 v[4:5], v[0:1], v[6:7], -v[4:5]
	v_add_f64 v[8:9], v[4:5], s[0:1]
	s_mov_b32 s0, 0x652b82fe
	s_mov_b32 s1, 0x3ff71547
	v_mul_f64 v[4:5], |v[2:3]|, s[0:1]
	s_mov_b32 s0, 0xa9225b87
	s_mov_b32 s1, 0x3e2d2c64
	v_fma_f64 v[6:7], v[0:1], v[8:9], -v[6:7]
	v_rndne_f64_e32 v[4:5], v[4:5]
	v_add_f64 v[10:11], v[6:7], s[0:1]
	s_mov_b32 s0, 0xfefa39ef
	s_mov_b32 s1, 0xbfe62e42
	v_fma_f64 v[6:7], v[4:5], s[0:1], |v[2:3]|
	s_mov_b32 s0, 0x80d6d56d
	s_mov_b32 s1, 0x3e585692
	v_fma_f64 v[8:9], v[0:1], v[10:11], -v[8:9]
	v_fma_f64 v[6:7], v[4:5], s[24:25], v[6:7]
	s_mov_b32 s24, 0x623fde64
	s_mov_b32 s25, 0x3ec71dee
	v_add_f64 v[8:9], v[8:9], s[0:1]
	s_mov_b32 s0, 0x6a5dcb37
	s_mov_b32 s1, 0x3e5ade15
	v_fma_f64 v[12:13], v[6:7], s[0:1], v[12:13]
	s_mov_b32 s0, 0xd9cd616e
	s_mov_b32 s1, 0x3e8b8007
	v_fma_f64 v[10:11], v[0:1], v[8:9], -v[10:11]
	v_fma_f64 v[12:13], v[6:7], v[12:13], s[24:25]
	s_mov_b32 s24, 0x14761f6e
	s_mov_b32 s25, 0x3f2a01a0
	v_add_f64 v[10:11], v[10:11], s[0:1]
	s_mov_b32 s0, 0x7c89e6b0
	s_mov_b32 s1, 0x3efa0199
	v_fma_f64 v[12:13], v[6:7], v[12:13], s[0:1]
	;; [unrolled: 10-line block ×4, first 2 shown]
	s_mov_b32 s0, 0xa2e59049
	s_mov_b32 s1, 0x3f6b998c
	v_fma_f64 v[8:9], v[0:1], v[10:11], -v[8:9]
	v_fma_f64 v[12:13], v[6:7], v[12:13], s[24:25]
	v_add_f64 v[8:9], v[8:9], s[0:1]
	s_mov_b32 s0, 11
	s_mov_b32 s1, 0x3fe00000
	v_fma_f64 v[12:13], v[6:7], v[12:13], s[0:1]
	s_mov_b32 s0, 0xaca809cb
	s_mov_b32 s1, 0x3fe9be62
	v_fma_f64 v[0:1], v[0:1], v[8:9], -v[10:11]
	v_fma_f64 v[8:9], v[21:22], v[17:18], v[19:20]
	v_fma_f64 v[12:13], v[6:7], v[12:13], 1.0
	v_add_f64 v[0:1], v[0:1], s[0:1]
	v_fma_f64 v[19:20], -v[8:9], v[8:9], v[15:16]
	s_mov_b32 s0, 0
	v_fma_f64 v[6:7], v[6:7], v[12:13], 1.0
	s_mov_b32 s1, 0x40900000
	v_cmp_ngt_f64_e64 s[0:1], |v[2:3]|, s[0:1]
	v_mov_b32_e32 v2, 0xffffff80
	v_cndmask_b32_e32 v2, 0, v2, vcc
	v_add_f64 v[0:1], v[0:1], -v[10:11]
	v_cvt_i32_f64_e32 v10, v[4:5]
	v_fma_f64 v[4:5], v[19:20], v[17:18], v[8:9]
	v_mov_b32_e32 v8, 0x7ff00000
	v_mov_b32_e32 v9, 0x260
	v_ldexp_f64 v[6:7], v[6:7], v10
	v_cmp_class_f64_e32 vcc, v[15:16], v9
	v_mul_f64 v[0:1], v[0:1], 0.5
	v_ldexp_f64 v[2:3], v[4:5], v2
	v_cndmask_b32_e64 v5, v8, v7, s[0:1]
	v_cndmask_b32_e64 v4, 0, v6, s[0:1]
	v_mul_f64 v[0:1], v[4:5], v[0:1]
	v_cndmask_b32_e32 v3, v3, v16, vcc
	v_cndmask_b32_e32 v2, v2, v15, vcc
	v_div_scale_f64 v[4:5], s[0:1], v[2:3], v[2:3], v[0:1]
	v_div_scale_f64 v[10:11], vcc, v[0:1], v[2:3], v[0:1]
	v_rcp_f64_e32 v[6:7], v[4:5]
	v_fma_f64 v[8:9], -v[4:5], v[6:7], 1.0
	v_fma_f64 v[6:7], v[6:7], v[8:9], v[6:7]
	v_fma_f64 v[8:9], -v[4:5], v[6:7], 1.0
	v_fma_f64 v[6:7], v[6:7], v[8:9], v[6:7]
	v_mul_f64 v[8:9], v[10:11], v[6:7]
	v_fma_f64 v[4:5], -v[4:5], v[8:9], v[10:11]
	v_div_fmas_f64 v[4:5], v[4:5], v[6:7], v[8:9]
	v_div_fixup_f64 v[0:1], v[4:5], v[2:3], v[0:1]
.LBB8_274:
	s_or_b64 exec, exec, s[20:21]
	v_mul_lo_u32 v2, v14, s2
	v_mov_b32_e32 v3, s9
	s_and_b32 s28, s33, 0xff
	s_cmp_lt_i32 s28, 11
	v_ashrrev_i32_e32 v5, 31, v2
	v_add_co_u32_e32 v4, vcc, s8, v2
	v_addc_co_u32_e32 v5, vcc, v3, v5, vcc
	s_cbranch_scc1 .LBB8_282
; %bb.275:
	s_and_b32 s29, 0xffff, s28
	s_cmp_gt_i32 s29, 25
	s_cbranch_scc0 .LBB8_284
; %bb.276:
	s_cmp_gt_i32 s29, 28
	s_cbranch_scc0 .LBB8_286
; %bb.277:
	;; [unrolled: 3-line block ×4, first 2 shown]
	s_mov_b64 s[24:25], 0
	s_mov_b64 s[0:1], -1
	s_cmp_eq_u32 s29, 46
	s_mov_b64 s[20:21], 0
	s_cbranch_scc0 .LBB8_298
; %bb.280:
	v_cvt_f32_f64_e32 v2, v[0:1]
	s_movk_i32 s0, 0x7fff
	v_mov_b32_e32 v3, 0x7fc0
	s_mov_b64 s[20:21], -1
	v_bfe_u32 v6, v2, 16, 1
	v_cmp_o_f32_e32 vcc, v2, v2
	v_add3_u32 v2, v2, v6, s0
	v_cndmask_b32_sdwa v2, v3, v2, vcc dst_sel:DWORD dst_unused:UNUSED_PAD src0_sel:DWORD src1_sel:WORD_1
	global_store_dword v[4:5], v2, off
	s_mov_b64 s[0:1], 0
	s_branch .LBB8_298
.LBB8_281:
	s_mov_b64 s[20:21], -1
	s_mov_b64 s[0:1], 0
	s_mov_b64 s[18:19], s[14:15]
                                        ; implicit-def: $vgpr2_vgpr3
	s_branch .LBB8_437
.LBB8_282:
	s_mov_b64 s[24:25], -1
	s_mov_b64 s[20:21], 0
	s_mov_b64 s[0:1], s[6:7]
	s_branch .LBB8_367
.LBB8_283:
	s_mov_b64 s[20:21], -1
	s_mov_b64 s[0:1], 0
	s_mov_b64 s[18:19], s[14:15]
                                        ; implicit-def: $vgpr2_vgpr3
	s_branch .LBB8_416
.LBB8_284:
	s_mov_b64 s[24:25], -1
	s_mov_b64 s[20:21], 0
	s_mov_b64 s[0:1], s[6:7]
	s_branch .LBB8_325
.LBB8_285:
	s_mov_b64 s[20:21], -1
	s_mov_b64 s[0:1], 0
	s_mov_b64 s[18:19], s[14:15]
                                        ; implicit-def: $vgpr2_vgpr3
	s_branch .LBB8_411
.LBB8_286:
	s_mov_b64 s[24:25], -1
	s_mov_b64 s[20:21], 0
	s_mov_b64 s[0:1], s[6:7]
	s_branch .LBB8_308
.LBB8_287:
	s_andn2_saveexec_b64 s[22:23], s[22:23]
	s_cbranch_execz .LBB8_59
.LBB8_288:
	s_mov_b32 s26, 0x46000000
	v_add_f32_e64 v3, |v2|, s26
	v_and_b32_e32 v3, 0xff, v3
	v_cmp_ne_u32_e32 vcc, 0, v3
	s_andn2_b64 s[18:19], s[18:19], exec
	s_and_b64 s[26:27], vcc, exec
	s_or_b64 s[18:19], s[18:19], s[26:27]
	s_or_b64 exec, exec, s[22:23]
	v_mov_b32_e32 v6, 0
	s_and_saveexec_b64 s[22:23], s[18:19]
	s_cbranch_execnz .LBB8_60
	s_branch .LBB8_61
.LBB8_289:
	s_mov_b64 s[20:21], -1
	s_mov_b64 s[0:1], 0
	s_mov_b64 s[18:19], s[14:15]
                                        ; implicit-def: $vgpr2_vgpr3
	s_branch .LBB8_294
.LBB8_290:
	s_mov_b64 s[24:25], -1
	s_mov_b64 s[20:21], 0
	s_mov_b64 s[0:1], s[6:7]
	s_branch .LBB8_304
.LBB8_291:
	s_andn2_saveexec_b64 s[22:23], s[22:23]
	s_cbranch_execz .LBB8_72
.LBB8_292:
	s_mov_b32 s26, 0x42800000
	v_add_f32_e64 v3, |v2|, s26
	v_and_b32_e32 v3, 0xff, v3
	v_cmp_ne_u32_e32 vcc, 0, v3
	s_andn2_b64 s[18:19], s[18:19], exec
	s_and_b64 s[26:27], vcc, exec
	s_or_b64 s[18:19], s[18:19], s[26:27]
	s_or_b64 exec, exec, s[22:23]
	v_mov_b32_e32 v6, 0
	s_and_saveexec_b64 s[22:23], s[18:19]
	s_cbranch_execnz .LBB8_73
	s_branch .LBB8_74
.LBB8_293:
	s_mov_b64 s[18:19], -1
                                        ; implicit-def: $vgpr2_vgpr3
	s_mov_b64 s[0:1], 0
.LBB8_294:
	s_and_b64 vcc, exec, s[20:21]
	s_cbranch_vccz .LBB8_410
; %bb.295:
	s_cmp_eq_u32 s26, 44
	s_cbranch_scc0 .LBB8_409
; %bb.296:
	global_load_ubyte v4, v[0:1], off
	s_movk_i32 s18, 0xff
	v_bfrev_b32_e32 v5, 4
	v_mov_b32_e32 v6, 0x7ff80000
	v_bfrev_b32_e32 v7, 28
	s_mov_b64 s[0:1], -1
	s_waitcnt vmcnt(0)
	v_lshlrev_b32_e32 v2, 23, v4
	v_cvt_f64_f32_e32 v[2:3], v2
	v_cmp_ne_u32_e32 vcc, s18, v4
	s_mov_b64 s[18:19], 0
	v_cndmask_b32_e32 v2, v5, v2, vcc
	v_cndmask_b32_e32 v3, v6, v3, vcc
	v_cmp_ne_u32_e32 vcc, 0, v4
	v_cndmask_b32_e32 v3, v7, v3, vcc
	v_cndmask_b32_e32 v2, 0, v2, vcc
	s_branch .LBB8_410
.LBB8_297:
	s_mov_b64 s[24:25], -1
	s_mov_b64 s[20:21], 0
	s_mov_b64 s[0:1], s[6:7]
.LBB8_298:
	s_and_b64 vcc, exec, s[24:25]
	s_cbranch_vccz .LBB8_303
; %bb.299:
	s_cmp_eq_u32 s29, 44
	s_mov_b64 s[0:1], -1
	s_cbranch_scc0 .LBB8_303
; %bb.300:
	v_cvt_f32_f64_e32 v2, v[0:1]
	s_movk_i32 s0, 0xff
	v_mov_b32_e32 v6, 0xff
	v_bfe_u32 v3, v2, 23, 8
	v_cmp_ne_u32_e32 vcc, s0, v3
	s_and_saveexec_b64 s[20:21], vcc
; %bb.301:
	s_mov_b32 s0, 0x3fffff
	v_lshrrev_b32_e32 v6, 23, v2
	v_and_b32_e32 v7, 0x400000, v2
	v_and_or_b32 v2, v2, s0, v3
	v_cmp_ne_u32_e32 vcc, 0, v7
	v_cmp_ne_u32_e64 s[0:1], 0, v2
	s_and_b64 s[0:1], vcc, s[0:1]
	v_cndmask_b32_e64 v2, 0, 1, s[0:1]
	v_add_u32_e32 v6, v6, v2
; %bb.302:
	s_or_b64 exec, exec, s[20:21]
	s_mov_b64 s[20:21], -1
	s_mov_b64 s[0:1], 0
	global_store_byte v[4:5], v6, off
.LBB8_303:
	s_mov_b64 s[24:25], 0
.LBB8_304:
	s_and_b64 vcc, exec, s[24:25]
	s_cbranch_vccz .LBB8_307
; %bb.305:
	s_cmp_eq_u32 s29, 29
	s_mov_b64 s[0:1], -1
	s_cbranch_scc0 .LBB8_307
; %bb.306:
	v_trunc_f64_e32 v[2:3], v[0:1]
	s_movk_i32 s0, 0xffe0
	s_mov_b64 s[20:21], -1
	s_mov_b64 s[24:25], 0
	v_ldexp_f64 v[6:7], v[2:3], s0
	s_mov_b32 s0, 0
	s_mov_b32 s1, 0xc1f00000
	v_floor_f64_e32 v[6:7], v[6:7]
	v_fma_f64 v[2:3], v[6:7], s[0:1], v[2:3]
	v_cvt_u32_f64_e32 v7, v[6:7]
	s_mov_b64 s[0:1], 0
	v_cvt_u32_f64_e32 v6, v[2:3]
	global_store_dwordx2 v[4:5], v[6:7], off
	s_branch .LBB8_308
.LBB8_307:
	s_mov_b64 s[24:25], 0
.LBB8_308:
	s_and_b64 vcc, exec, s[24:25]
	s_cbranch_vccz .LBB8_324
; %bb.309:
	s_cmp_lt_i32 s29, 27
	s_mov_b64 s[20:21], -1
	s_cbranch_scc1 .LBB8_315
; %bb.310:
	v_cvt_u32_f64_e32 v2, v[0:1]
	s_cmp_gt_i32 s29, 27
	s_cbranch_scc0 .LBB8_312
; %bb.311:
	s_mov_b64 s[20:21], 0
	global_store_dword v[4:5], v2, off
.LBB8_312:
	s_andn2_b64 vcc, exec, s[20:21]
	s_cbranch_vccnz .LBB8_314
; %bb.313:
	global_store_short v[4:5], v2, off
.LBB8_314:
	s_mov_b64 s[20:21], 0
.LBB8_315:
	s_andn2_b64 vcc, exec, s[20:21]
	s_cbranch_vccnz .LBB8_323
; %bb.316:
	v_cvt_f32_f64_e32 v2, v[0:1]
	s_mov_b32 s20, 0x43800000
	v_mov_b32_e32 v6, 0x80
	v_and_b32_e32 v3, 0x7fffffff, v2
	v_cmp_gt_u32_e32 vcc, s20, v3
	s_and_saveexec_b64 s[20:21], vcc
	s_cbranch_execz .LBB8_322
; %bb.317:
	s_mov_b32 s24, 0x3bffffff
	v_cmp_lt_u32_e32 vcc, s24, v3
	s_mov_b64 s[24:25], 0
                                        ; implicit-def: $vgpr3
	s_and_saveexec_b64 s[26:27], vcc
	s_xor_b64 s[26:27], exec, s[26:27]
	s_cbranch_execz .LBB8_534
; %bb.318:
	v_bfe_u32 v3, v2, 20, 1
	s_mov_b32 s30, 0x487ffff
	v_add3_u32 v3, v2, v3, s30
	s_mov_b64 s[24:25], exec
	v_lshrrev_b32_e32 v3, 20, v3
	s_andn2_saveexec_b64 s[26:27], s[26:27]
	s_cbranch_execnz .LBB8_535
.LBB8_319:
	s_or_b64 exec, exec, s[26:27]
	v_mov_b32_e32 v6, 0
	s_and_saveexec_b64 s[26:27], s[24:25]
.LBB8_320:
	v_lshrrev_b32_e32 v2, 24, v2
	s_movk_i32 s24, 0x80
	v_and_or_b32 v6, v2, s24, v3
.LBB8_321:
	s_or_b64 exec, exec, s[26:27]
.LBB8_322:
	s_or_b64 exec, exec, s[20:21]
	global_store_byte v[4:5], v6, off
.LBB8_323:
	s_mov_b64 s[20:21], -1
.LBB8_324:
	s_mov_b64 s[24:25], 0
.LBB8_325:
	s_and_b64 vcc, exec, s[24:25]
	s_cbranch_vccz .LBB8_366
; %bb.326:
	s_cmp_gt_i32 s29, 22
	s_mov_b64 s[24:25], -1
	s_cbranch_scc0 .LBB8_358
; %bb.327:
	s_cmp_lt_i32 s29, 24
	s_mov_b64 s[20:21], -1
	s_cbranch_scc1 .LBB8_347
; %bb.328:
	s_cmp_gt_i32 s29, 24
	s_cbranch_scc0 .LBB8_336
; %bb.329:
	v_cvt_f32_f64_e32 v2, v[0:1]
	s_mov_b32 s20, 0x47800000
	v_mov_b32_e32 v6, 0x80
	v_and_b32_e32 v3, 0x7fffffff, v2
	v_cmp_gt_u32_e32 vcc, s20, v3
	s_and_saveexec_b64 s[20:21], vcc
	s_cbranch_execz .LBB8_335
; %bb.330:
	s_mov_b32 s24, 0x37ffffff
	v_cmp_lt_u32_e32 vcc, s24, v3
	s_mov_b64 s[24:25], 0
                                        ; implicit-def: $vgpr3
	s_and_saveexec_b64 s[26:27], vcc
	s_xor_b64 s[26:27], exec, s[26:27]
	s_cbranch_execz .LBB8_537
; %bb.331:
	v_bfe_u32 v3, v2, 21, 1
	s_mov_b32 s30, 0x88fffff
	v_add3_u32 v3, v2, v3, s30
	s_mov_b64 s[24:25], exec
	v_lshrrev_b32_e32 v3, 21, v3
	s_andn2_saveexec_b64 s[26:27], s[26:27]
	s_cbranch_execnz .LBB8_538
.LBB8_332:
	s_or_b64 exec, exec, s[26:27]
	v_mov_b32_e32 v6, 0
	s_and_saveexec_b64 s[26:27], s[24:25]
.LBB8_333:
	v_lshrrev_b32_e32 v2, 24, v2
	s_movk_i32 s24, 0x80
	v_and_or_b32 v6, v2, s24, v3
.LBB8_334:
	s_or_b64 exec, exec, s[26:27]
.LBB8_335:
	s_or_b64 exec, exec, s[20:21]
	s_mov_b64 s[20:21], 0
	global_store_byte v[4:5], v6, off
.LBB8_336:
	s_and_b64 vcc, exec, s[20:21]
	s_cbranch_vccz .LBB8_346
; %bb.337:
	v_cvt_f32_f64_e32 v2, v[0:1]
	s_mov_b32 s20, 0x43f00000
                                        ; implicit-def: $vgpr3
	v_and_b32_e32 v6, 0x7fffffff, v2
	v_cmp_gt_u32_e32 vcc, s20, v6
	s_and_saveexec_b64 s[20:21], vcc
	s_xor_b64 s[20:21], exec, s[20:21]
	s_cbranch_execz .LBB8_343
; %bb.338:
	s_mov_b32 s24, 0x3c7fffff
	v_cmp_lt_u32_e32 vcc, s24, v6
                                        ; implicit-def: $vgpr3
	s_and_saveexec_b64 s[24:25], vcc
	s_xor_b64 s[24:25], exec, s[24:25]
; %bb.339:
	v_bfe_u32 v3, v2, 20, 1
	s_mov_b32 s26, 0x407ffff
	v_add3_u32 v3, v2, v3, s26
	v_lshrrev_b32_e32 v6, 20, v3
	v_and_b32_e32 v3, 0xff00000, v3
	s_mov_b32 s26, 0x7f00000
	v_mov_b32_e32 v7, 0x7e
	v_cmp_ne_u32_e32 vcc, s26, v3
	v_cndmask_b32_e32 v3, v7, v6, vcc
; %bb.340:
	s_andn2_saveexec_b64 s[24:25], s[24:25]
; %bb.341:
	s_mov_b32 s26, 0x46800000
	v_add_f32_e64 v3, |v2|, s26
; %bb.342:
	s_or_b64 exec, exec, s[24:25]
                                        ; implicit-def: $vgpr6
.LBB8_343:
	s_andn2_saveexec_b64 s[20:21], s[20:21]
; %bb.344:
	s_mov_b32 s24, 0x7f800000
	v_mov_b32_e32 v3, 0x7e
	v_mov_b32_e32 v7, 0x7f
	v_cmp_lt_u32_e32 vcc, s24, v6
	v_cndmask_b32_e32 v3, v3, v7, vcc
; %bb.345:
	s_or_b64 exec, exec, s[20:21]
	v_lshrrev_b32_e32 v2, 24, v2
	s_movk_i32 s20, 0x80
	v_and_or_b32 v2, v2, s20, v3
	global_store_byte v[4:5], v2, off
.LBB8_346:
	s_mov_b64 s[20:21], 0
.LBB8_347:
	s_andn2_b64 vcc, exec, s[20:21]
	s_cbranch_vccnz .LBB8_357
; %bb.348:
	v_cvt_f32_f64_e32 v2, v[0:1]
	s_mov_b32 s20, 0x47800000
                                        ; implicit-def: $vgpr3
	v_and_b32_e32 v6, 0x7fffffff, v2
	v_cmp_gt_u32_e32 vcc, s20, v6
	s_and_saveexec_b64 s[20:21], vcc
	s_xor_b64 s[20:21], exec, s[20:21]
	s_cbranch_execz .LBB8_354
; %bb.349:
	s_mov_b32 s24, 0x387fffff
	v_cmp_lt_u32_e32 vcc, s24, v6
                                        ; implicit-def: $vgpr3
	s_and_saveexec_b64 s[24:25], vcc
	s_xor_b64 s[24:25], exec, s[24:25]
; %bb.350:
	v_bfe_u32 v3, v2, 21, 1
	s_mov_b32 s26, 0x80fffff
	v_add3_u32 v3, v2, v3, s26
	v_lshrrev_b32_e32 v3, 21, v3
; %bb.351:
	s_andn2_saveexec_b64 s[24:25], s[24:25]
; %bb.352:
	s_mov_b32 s26, 0x43000000
	v_add_f32_e64 v3, |v2|, s26
; %bb.353:
	s_or_b64 exec, exec, s[24:25]
                                        ; implicit-def: $vgpr6
.LBB8_354:
	s_andn2_saveexec_b64 s[20:21], s[20:21]
; %bb.355:
	s_mov_b32 s24, 0x7f800000
	v_mov_b32_e32 v3, 0x7c
	v_mov_b32_e32 v7, 0x7f
	v_cmp_lt_u32_e32 vcc, s24, v6
	v_cndmask_b32_e32 v3, v3, v7, vcc
; %bb.356:
	s_or_b64 exec, exec, s[20:21]
	v_lshrrev_b32_e32 v2, 24, v2
	s_movk_i32 s20, 0x80
	v_and_or_b32 v2, v2, s20, v3
	global_store_byte v[4:5], v2, off
.LBB8_357:
	s_mov_b64 s[24:25], 0
	s_mov_b64 s[20:21], -1
.LBB8_358:
	s_andn2_b64 vcc, exec, s[24:25]
	s_cbranch_vccnz .LBB8_366
; %bb.359:
	s_cmp_gt_i32 s29, 14
	s_mov_b64 s[24:25], -1
	s_cbranch_scc0 .LBB8_363
; %bb.360:
	s_cmp_eq_u32 s29, 15
	s_mov_b64 s[0:1], -1
	s_cbranch_scc0 .LBB8_362
; %bb.361:
	v_cvt_f32_f64_e32 v2, v[0:1]
	s_movk_i32 s0, 0x7fff
	v_mov_b32_e32 v3, 0x7fc0
	s_mov_b64 s[20:21], -1
	v_bfe_u32 v6, v2, 16, 1
	v_cmp_o_f32_e32 vcc, v2, v2
	v_add3_u32 v2, v2, v6, s0
	v_cndmask_b32_sdwa v2, v3, v2, vcc dst_sel:DWORD dst_unused:UNUSED_PAD src0_sel:DWORD src1_sel:WORD_1
	global_store_short v[4:5], v2, off
	s_mov_b64 s[0:1], 0
.LBB8_362:
	s_mov_b64 s[24:25], 0
.LBB8_363:
	s_and_b64 vcc, exec, s[24:25]
	s_cbranch_vccz .LBB8_366
; %bb.364:
	s_cmp_eq_u32 s29, 11
	s_mov_b64 s[0:1], -1
	s_cbranch_scc0 .LBB8_366
; %bb.365:
	v_cmp_neq_f64_e32 vcc, 0, v[0:1]
	s_mov_b64 s[0:1], 0
	s_mov_b64 s[20:21], -1
	v_cndmask_b32_e64 v2, 0, 1, vcc
	global_store_byte v[4:5], v2, off
.LBB8_366:
	s_mov_b64 s[24:25], 0
.LBB8_367:
	s_and_b64 vcc, exec, s[24:25]
	s_cbranch_vccz .LBB8_406
; %bb.368:
	s_and_b32 s24, 0xffff, s28
	s_cmp_lt_i32 s24, 5
	s_mov_b64 s[20:21], -1
	s_cbranch_scc1 .LBB8_389
; %bb.369:
	s_cmp_lt_i32 s24, 8
	s_cbranch_scc1 .LBB8_379
; %bb.370:
	s_cmp_lt_i32 s24, 9
	s_cbranch_scc1 .LBB8_376
; %bb.371:
	s_cmp_gt_i32 s24, 9
	s_cbranch_scc0 .LBB8_373
; %bb.372:
	v_mov_b32_e32 v2, 0
	v_mov_b32_e32 v3, v2
	s_mov_b64 s[20:21], 0
	global_store_dwordx4 v[4:5], v[0:3], off
.LBB8_373:
	s_andn2_b64 vcc, exec, s[20:21]
	s_cbranch_vccnz .LBB8_375
; %bb.374:
	v_cvt_f32_f64_e32 v2, v[0:1]
	v_mov_b32_e32 v3, 0
	global_store_dwordx2 v[4:5], v[2:3], off
.LBB8_375:
	s_mov_b64 s[20:21], 0
.LBB8_376:
	s_andn2_b64 vcc, exec, s[20:21]
	s_cbranch_vccnz .LBB8_378
; %bb.377:
	s_movk_i32 s20, 0x1ff
	v_and_or_b32 v2, v1, s20, v0
	v_cmp_ne_u32_e32 vcc, 0, v2
	v_cndmask_b32_e64 v2, 0, 1, vcc
	v_lshrrev_b32_e32 v3, 8, v1
	s_movk_i32 s20, 0xffe
	v_bfe_u32 v6, v1, 20, 11
	v_and_or_b32 v2, v3, s20, v2
	v_sub_u32_e32 v7, 0x3f1, v6
	v_or_b32_e32 v3, 0x1000, v2
	v_med3_i32 v7, v7, 0, 13
	v_lshrrev_b32_e32 v8, v7, v3
	v_lshlrev_b32_e32 v7, v7, v8
	v_cmp_ne_u32_e32 vcc, v7, v3
	v_cndmask_b32_e64 v3, 0, 1, vcc
	v_add_u32_e32 v6, 0xfffffc10, v6
	v_or_b32_e32 v3, v8, v3
	v_lshl_or_b32 v7, v6, 12, v2
	v_cmp_gt_i32_e32 vcc, 1, v6
	v_cndmask_b32_e32 v3, v7, v3, vcc
	v_and_b32_e32 v7, 7, v3
	v_cmp_lt_i32_e32 vcc, 5, v7
	v_cndmask_b32_e64 v8, 0, 1, vcc
	v_cmp_eq_u32_e32 vcc, 3, v7
	v_cndmask_b32_e64 v7, 0, 1, vcc
	v_or_b32_e32 v7, v7, v8
	v_lshrrev_b32_e32 v3, 2, v3
	v_add_u32_e32 v3, v3, v7
	v_mov_b32_e32 v7, 0x7c00
	v_cmp_gt_i32_e32 vcc, 31, v6
	v_cndmask_b32_e32 v3, v7, v3, vcc
	v_mov_b32_e32 v8, 0x7e00
	v_cmp_ne_u32_e32 vcc, 0, v2
	s_movk_i32 s20, 0x40f
	v_cndmask_b32_e32 v2, v7, v8, vcc
	v_cmp_eq_u32_e32 vcc, s20, v6
	v_cndmask_b32_e32 v2, v3, v2, vcc
	v_lshrrev_b32_e32 v3, 16, v1
	s_mov_b32 s20, 0x8000
	v_and_or_b32 v2, v3, s20, v2
	v_and_b32_e32 v2, 0xffff, v2
	global_store_dword v[4:5], v2, off
.LBB8_378:
	s_mov_b64 s[20:21], 0
.LBB8_379:
	s_andn2_b64 vcc, exec, s[20:21]
	s_cbranch_vccnz .LBB8_388
; %bb.380:
	s_cmp_lt_i32 s24, 6
	s_mov_b64 s[20:21], -1
	s_cbranch_scc1 .LBB8_386
; %bb.381:
	s_cmp_gt_i32 s24, 6
	s_cbranch_scc0 .LBB8_383
; %bb.382:
	s_mov_b64 s[20:21], 0
	global_store_dwordx2 v[4:5], v[0:1], off
.LBB8_383:
	s_andn2_b64 vcc, exec, s[20:21]
	s_cbranch_vccnz .LBB8_385
; %bb.384:
	v_cvt_f32_f64_e32 v2, v[0:1]
	global_store_dword v[4:5], v2, off
.LBB8_385:
	s_mov_b64 s[20:21], 0
.LBB8_386:
	s_andn2_b64 vcc, exec, s[20:21]
	s_cbranch_vccnz .LBB8_388
; %bb.387:
	s_movk_i32 s20, 0x1ff
	v_and_or_b32 v2, v1, s20, v0
	v_cmp_ne_u32_e32 vcc, 0, v2
	v_cndmask_b32_e64 v2, 0, 1, vcc
	v_lshrrev_b32_e32 v3, 8, v1
	s_movk_i32 s20, 0xffe
	v_bfe_u32 v6, v1, 20, 11
	v_and_or_b32 v2, v3, s20, v2
	v_sub_u32_e32 v7, 0x3f1, v6
	v_or_b32_e32 v3, 0x1000, v2
	v_med3_i32 v7, v7, 0, 13
	v_lshrrev_b32_e32 v8, v7, v3
	v_lshlrev_b32_e32 v7, v7, v8
	v_cmp_ne_u32_e32 vcc, v7, v3
	v_cndmask_b32_e64 v3, 0, 1, vcc
	v_add_u32_e32 v6, 0xfffffc10, v6
	v_or_b32_e32 v3, v8, v3
	v_lshl_or_b32 v7, v6, 12, v2
	v_cmp_gt_i32_e32 vcc, 1, v6
	v_cndmask_b32_e32 v3, v7, v3, vcc
	v_and_b32_e32 v7, 7, v3
	v_cmp_lt_i32_e32 vcc, 5, v7
	v_cndmask_b32_e64 v8, 0, 1, vcc
	v_cmp_eq_u32_e32 vcc, 3, v7
	v_cndmask_b32_e64 v7, 0, 1, vcc
	v_or_b32_e32 v7, v7, v8
	v_lshrrev_b32_e32 v3, 2, v3
	v_add_u32_e32 v3, v3, v7
	v_mov_b32_e32 v7, 0x7c00
	v_cmp_gt_i32_e32 vcc, 31, v6
	v_cndmask_b32_e32 v3, v7, v3, vcc
	v_mov_b32_e32 v8, 0x7e00
	v_cmp_ne_u32_e32 vcc, 0, v2
	s_movk_i32 s20, 0x40f
	v_cndmask_b32_e32 v2, v7, v8, vcc
	v_cmp_eq_u32_e32 vcc, s20, v6
	v_cndmask_b32_e32 v2, v3, v2, vcc
	v_lshrrev_b32_e32 v3, 16, v1
	s_mov_b32 s20, 0x8000
	v_and_or_b32 v2, v3, s20, v2
	global_store_short v[4:5], v2, off
.LBB8_388:
	s_mov_b64 s[20:21], 0
.LBB8_389:
	s_andn2_b64 vcc, exec, s[20:21]
	s_cbranch_vccnz .LBB8_405
; %bb.390:
	s_cmp_lt_i32 s24, 2
	s_mov_b64 s[20:21], -1
	s_cbranch_scc1 .LBB8_400
; %bb.391:
	s_cmp_lt_i32 s24, 3
	s_cbranch_scc1 .LBB8_397
; %bb.392:
	s_cmp_gt_i32 s24, 3
	s_cbranch_scc0 .LBB8_394
; %bb.393:
	v_trunc_f64_e32 v[2:3], v[0:1]
	s_movk_i32 s20, 0xffe0
	v_ldexp_f64 v[6:7], v[2:3], s20
	s_mov_b32 s20, 0
	s_mov_b32 s21, 0xc1f00000
	v_floor_f64_e32 v[6:7], v[6:7]
	v_fma_f64 v[2:3], v[6:7], s[20:21], v[2:3]
	v_cvt_i32_f64_e32 v7, v[6:7]
	s_mov_b64 s[20:21], 0
	v_cvt_u32_f64_e32 v6, v[2:3]
	global_store_dwordx2 v[4:5], v[6:7], off
.LBB8_394:
	s_andn2_b64 vcc, exec, s[20:21]
	s_cbranch_vccnz .LBB8_396
; %bb.395:
	v_cvt_i32_f64_e32 v2, v[0:1]
	global_store_dword v[4:5], v2, off
.LBB8_396:
	s_mov_b64 s[20:21], 0
.LBB8_397:
	s_andn2_b64 vcc, exec, s[20:21]
	s_cbranch_vccnz .LBB8_399
; %bb.398:
	v_cvt_i32_f64_e32 v2, v[0:1]
	global_store_short v[4:5], v2, off
.LBB8_399:
	s_mov_b64 s[20:21], 0
.LBB8_400:
	s_andn2_b64 vcc, exec, s[20:21]
	s_cbranch_vccnz .LBB8_405
; %bb.401:
	s_cmp_gt_i32 s24, 0
	s_mov_b64 s[20:21], -1
	s_cbranch_scc0 .LBB8_403
; %bb.402:
	v_cvt_i32_f64_e32 v2, v[0:1]
	s_mov_b64 s[20:21], 0
	global_store_byte v[4:5], v2, off
.LBB8_403:
	s_andn2_b64 vcc, exec, s[20:21]
	s_cbranch_vccnz .LBB8_405
; %bb.404:
	v_trunc_f64_e32 v[0:1], v[0:1]
	s_movk_i32 s20, 0xffe0
	v_ldexp_f64 v[2:3], v[0:1], s20
	s_mov_b32 s20, 0
	s_mov_b32 s21, 0xc1f00000
	v_floor_f64_e32 v[2:3], v[2:3]
	v_fma_f64 v[0:1], v[2:3], s[20:21], v[0:1]
	v_cvt_u32_f64_e32 v0, v[0:1]
	global_store_byte v[4:5], v0, off
.LBB8_405:
	s_mov_b64 s[20:21], -1
.LBB8_406:
	s_andn2_b64 vcc, exec, s[20:21]
	s_cbranch_vccnz .LBB8_408
; %bb.407:
	v_add_u32_e32 v14, 0x80, v14
	s_mov_b64 s[24:25], -1
	s_branch .LBB8_520
.LBB8_408:
	s_mov_b64 s[24:25], 0
                                        ; implicit-def: $vgpr14
	s_branch .LBB8_520
.LBB8_409:
	s_mov_b64 s[18:19], -1
                                        ; implicit-def: $vgpr2_vgpr3
.LBB8_410:
	s_mov_b64 s[20:21], 0
.LBB8_411:
	s_and_b64 vcc, exec, s[20:21]
	s_cbranch_vccz .LBB8_415
; %bb.412:
	s_cmp_eq_u32 s26, 29
	s_cbranch_scc0 .LBB8_414
; %bb.413:
	global_load_dwordx2 v[2:3], v[0:1], off
	s_mov_b64 s[0:1], -1
	s_mov_b64 s[18:19], 0
	s_mov_b64 s[20:21], 0
	s_waitcnt vmcnt(0)
	v_cvt_f64_u32_e32 v[3:4], v3
	v_cvt_f64_u32_e32 v[5:6], v2
	v_ldexp_f64 v[3:4], v[3:4], 32
	v_add_f64 v[2:3], v[3:4], v[5:6]
	s_branch .LBB8_416
.LBB8_414:
	s_mov_b64 s[18:19], -1
                                        ; implicit-def: $vgpr2_vgpr3
.LBB8_415:
	s_mov_b64 s[20:21], 0
.LBB8_416:
	s_and_b64 vcc, exec, s[20:21]
	s_cbranch_vccz .LBB8_436
; %bb.417:
	s_cmp_lt_i32 s26, 27
	s_cbranch_scc1 .LBB8_420
; %bb.418:
	s_cmp_gt_i32 s26, 27
	s_cbranch_scc0 .LBB8_421
; %bb.419:
	global_load_dword v2, v[0:1], off
	s_mov_b64 s[0:1], 0
	s_waitcnt vmcnt(0)
	v_cvt_f64_u32_e32 v[2:3], v2
	s_branch .LBB8_422
.LBB8_420:
	s_mov_b64 s[0:1], -1
                                        ; implicit-def: $vgpr2_vgpr3
	s_branch .LBB8_425
.LBB8_421:
	s_mov_b64 s[0:1], -1
                                        ; implicit-def: $vgpr2_vgpr3
.LBB8_422:
	s_andn2_b64 vcc, exec, s[0:1]
	s_cbranch_vccnz .LBB8_424
; %bb.423:
	global_load_ushort v2, v[0:1], off
	s_waitcnt vmcnt(0)
	v_cvt_f64_u32_e32 v[2:3], v2
.LBB8_424:
	s_mov_b64 s[0:1], 0
.LBB8_425:
	s_andn2_b64 vcc, exec, s[0:1]
	s_cbranch_vccnz .LBB8_435
; %bb.426:
	global_load_ubyte v4, v[0:1], off
	s_movk_i32 s0, 0x7f
	s_waitcnt vmcnt(0)
	v_cmp_lt_i16_e32 vcc, s0, v4
	s_mov_b64 s[0:1], 0
	s_and_saveexec_b64 s[20:21], vcc
	s_xor_b64 s[20:21], exec, s[20:21]
	s_cbranch_execz .LBB8_430
; %bb.427:
	s_movk_i32 s0, 0x80
	v_cmp_eq_u16_e32 vcc, s0, v4
	s_mov_b64 s[0:1], -1
	s_and_saveexec_b64 s[24:25], vcc
; %bb.428:
	s_xor_b64 s[0:1], exec, -1
; %bb.429:
	s_or_b64 exec, exec, s[24:25]
	s_and_b64 s[0:1], s[0:1], exec
.LBB8_430:
	s_or_saveexec_b64 s[20:21], s[20:21]
	v_bfrev_b32_e32 v2, 4
	v_mov_b32_e32 v3, 0x7ff80000
	s_xor_b64 exec, exec, s[20:21]
; %bb.431:
	v_cmp_ne_u16_e32 vcc, 0, v4
	v_mov_b32_e32 v2, 0
	s_andn2_b64 s[0:1], s[0:1], exec
	s_and_b64 s[24:25], vcc, exec
	v_mov_b32_e32 v3, 0
	s_or_b64 s[0:1], s[0:1], s[24:25]
; %bb.432:
	s_or_b64 exec, exec, s[20:21]
	s_and_saveexec_b64 s[20:21], s[0:1]
	s_cbranch_execz .LBB8_434
; %bb.433:
	v_and_b32_e32 v3, 0xffff, v4
	v_lshlrev_b32_e32 v2, 24, v4
	v_and_b32_e32 v4, 7, v3
	v_ffbh_u32_e32 v6, v4
	v_min_u32_e32 v6, 32, v6
	v_subrev_u32_e32 v7, 28, v6
	v_bfe_u32 v5, v3, 3, 4
	v_lshlrev_b32_e32 v3, v7, v3
	v_sub_u32_e32 v6, 29, v6
	v_and_b32_e32 v3, 7, v3
	v_cmp_eq_u32_e32 vcc, 0, v5
	v_cndmask_b32_e32 v5, v5, v6, vcc
	v_cndmask_b32_e32 v3, v4, v3, vcc
	v_mov_b32_e32 v4, 0x3b800000
	v_lshlrev_b32_e32 v3, 20, v3
	v_and_b32_e32 v2, 0x80000000, v2
	v_lshl_add_u32 v4, v5, 23, v4
	v_or3_b32 v2, v2, v4, v3
	v_cvt_f64_f32_e32 v[2:3], v2
.LBB8_434:
	s_or_b64 exec, exec, s[20:21]
.LBB8_435:
	s_mov_b64 s[0:1], -1
.LBB8_436:
	s_mov_b64 s[20:21], 0
.LBB8_437:
	s_and_b64 vcc, exec, s[20:21]
	s_cbranch_vccz .LBB8_470
; %bb.438:
	s_cmp_gt_i32 s26, 22
	s_cbranch_scc0 .LBB8_450
; %bb.439:
	s_cmp_lt_i32 s26, 24
	s_cbranch_scc1 .LBB8_451
; %bb.440:
	s_cmp_gt_i32 s26, 24
	s_cbranch_scc0 .LBB8_452
; %bb.441:
	global_load_ubyte v4, v[0:1], off
	s_movk_i32 s0, 0x7f
	s_waitcnt vmcnt(0)
	v_cmp_lt_i16_e32 vcc, s0, v4
	s_mov_b64 s[0:1], 0
	s_and_saveexec_b64 s[20:21], vcc
	s_xor_b64 s[20:21], exec, s[20:21]
	s_cbranch_execz .LBB8_445
; %bb.442:
	s_movk_i32 s0, 0x80
	v_cmp_eq_u16_e32 vcc, s0, v4
	s_mov_b64 s[0:1], -1
	s_and_saveexec_b64 s[24:25], vcc
; %bb.443:
	s_xor_b64 s[0:1], exec, -1
; %bb.444:
	s_or_b64 exec, exec, s[24:25]
	s_and_b64 s[0:1], s[0:1], exec
.LBB8_445:
	s_or_saveexec_b64 s[20:21], s[20:21]
	v_bfrev_b32_e32 v2, 4
	v_mov_b32_e32 v3, 0x7ff80000
	s_xor_b64 exec, exec, s[20:21]
; %bb.446:
	v_cmp_ne_u16_e32 vcc, 0, v4
	v_mov_b32_e32 v2, 0
	s_andn2_b64 s[0:1], s[0:1], exec
	s_and_b64 s[24:25], vcc, exec
	v_mov_b32_e32 v3, 0
	s_or_b64 s[0:1], s[0:1], s[24:25]
; %bb.447:
	s_or_b64 exec, exec, s[20:21]
	s_and_saveexec_b64 s[20:21], s[0:1]
	s_cbranch_execz .LBB8_449
; %bb.448:
	v_and_b32_e32 v3, 0xffff, v4
	v_lshlrev_b32_e32 v2, 24, v4
	v_and_b32_e32 v4, 3, v3
	v_ffbh_u32_e32 v6, v4
	v_min_u32_e32 v6, 32, v6
	v_subrev_u32_e32 v7, 29, v6
	v_bfe_u32 v5, v3, 2, 5
	v_lshlrev_b32_e32 v3, v7, v3
	v_sub_u32_e32 v6, 30, v6
	v_and_b32_e32 v3, 3, v3
	v_cmp_eq_u32_e32 vcc, 0, v5
	v_cndmask_b32_e32 v5, v5, v6, vcc
	v_cndmask_b32_e32 v3, v4, v3, vcc
	v_mov_b32_e32 v4, 0x37800000
	v_lshlrev_b32_e32 v3, 21, v3
	v_and_b32_e32 v2, 0x80000000, v2
	v_lshl_add_u32 v4, v5, 23, v4
	v_or3_b32 v2, v2, v4, v3
	v_cvt_f64_f32_e32 v[2:3], v2
.LBB8_449:
	s_or_b64 exec, exec, s[20:21]
	s_mov_b64 s[0:1], 0
	s_branch .LBB8_453
.LBB8_450:
	s_mov_b64 s[20:21], -1
                                        ; implicit-def: $vgpr2_vgpr3
	s_branch .LBB8_459
.LBB8_451:
	s_mov_b64 s[0:1], -1
                                        ; implicit-def: $vgpr2_vgpr3
	s_branch .LBB8_456
.LBB8_452:
	s_mov_b64 s[0:1], -1
                                        ; implicit-def: $vgpr2_vgpr3
.LBB8_453:
	s_and_b64 vcc, exec, s[0:1]
	s_cbranch_vccz .LBB8_455
; %bb.454:
	global_load_ubyte v2, v[0:1], off
	s_mov_b32 s0, 0x7f800000
	s_waitcnt vmcnt(0)
	v_lshlrev_b32_e32 v2, 24, v2
	v_and_b32_e32 v3, 0x7f000000, v2
	v_ffbh_u32_e32 v4, v3
	v_min_u32_e32 v4, 32, v4
	v_sub_u32_e64 v4, v4, 4 clamp
	v_lshlrev_b32_e32 v6, v4, v3
	v_lshlrev_b32_e32 v4, 23, v4
	v_lshrrev_b32_e32 v6, 4, v6
	v_add_u32_e32 v5, 0x1000000, v3
	v_sub_u32_e32 v4, v6, v4
	v_ashrrev_i32_e32 v5, 8, v5
	v_add_u32_e32 v4, 0x3c000000, v4
	v_and_or_b32 v4, v5, s0, v4
	v_cmp_ne_u32_e32 vcc, 0, v3
	v_cndmask_b32_e32 v3, 0, v4, vcc
	s_brev_b32 s0, 1
	v_and_or_b32 v2, v2, s0, v3
	v_cvt_f64_f32_e32 v[2:3], v2
.LBB8_455:
	s_mov_b64 s[0:1], 0
.LBB8_456:
	s_andn2_b64 vcc, exec, s[0:1]
	s_cbranch_vccnz .LBB8_458
; %bb.457:
	global_load_ubyte v2, v[0:1], off
	s_movk_i32 s0, 0x7f00
	s_brev_b32 s1, 16
	s_waitcnt vmcnt(0)
	v_lshlrev_b16_e32 v3, 8, v2
	v_lshlrev_b32_e32 v2, 25, v2
	v_lshrrev_b32_e32 v4, 4, v2
	v_and_or_b32 v5, v3, s0, 0.5
	v_or_b32_e32 v4, 0x70000000, v4
	v_add_f32_e32 v5, -0.5, v5
	v_mul_f32_e32 v4, 0x7800000, v4
	v_cmp_gt_u32_e32 vcc, s1, v2
	v_bfe_i32 v3, v3, 0, 16
	v_cndmask_b32_e32 v2, v4, v5, vcc
	s_brev_b32 s0, 1
	v_and_or_b32 v2, v3, s0, v2
	v_cvt_f64_f32_e32 v[2:3], v2
.LBB8_458:
	s_mov_b64 s[20:21], 0
	s_mov_b64 s[0:1], -1
.LBB8_459:
	s_andn2_b64 vcc, exec, s[20:21]
	s_cbranch_vccnz .LBB8_470
; %bb.460:
	s_cmp_gt_i32 s26, 14
	s_cbranch_scc0 .LBB8_463
; %bb.461:
	s_cmp_eq_u32 s26, 15
	s_cbranch_scc0 .LBB8_464
; %bb.462:
	global_load_ushort v2, v[0:1], off
	s_mov_b64 s[0:1], -1
	s_mov_b64 s[18:19], 0
	s_waitcnt vmcnt(0)
	v_lshlrev_b32_e32 v2, 16, v2
	v_cvt_f64_f32_e32 v[2:3], v2
	s_branch .LBB8_465
.LBB8_463:
	s_mov_b64 s[20:21], -1
                                        ; implicit-def: $vgpr2_vgpr3
	s_branch .LBB8_466
.LBB8_464:
	s_mov_b64 s[18:19], -1
                                        ; implicit-def: $vgpr2_vgpr3
.LBB8_465:
	s_mov_b64 s[20:21], 0
.LBB8_466:
	s_and_b64 vcc, exec, s[20:21]
	s_cbranch_vccz .LBB8_470
; %bb.467:
	s_cmp_eq_u32 s26, 11
	s_cbranch_scc0 .LBB8_469
; %bb.468:
	global_load_ubyte v3, v[0:1], off
	v_mov_b32_e32 v4, 0x3ff00000
	v_mov_b32_e32 v2, 0
	s_mov_b64 s[0:1], -1
	s_mov_b64 s[18:19], 0
	s_waitcnt vmcnt(0)
	v_cmp_ne_u16_e32 vcc, 0, v3
	v_cndmask_b32_e32 v3, 0, v4, vcc
	s_branch .LBB8_470
.LBB8_469:
	s_mov_b64 s[18:19], -1
                                        ; implicit-def: $vgpr2_vgpr3
.LBB8_470:
	s_branch .LBB8_269
.LBB8_471:
	s_cmp_lt_i32 s26, 5
	s_cbranch_scc1 .LBB8_476
; %bb.472:
	s_cmp_lt_i32 s26, 8
	s_cbranch_scc1 .LBB8_477
; %bb.473:
	;; [unrolled: 3-line block ×3, first 2 shown]
	s_cmp_gt_i32 s26, 9
	s_cbranch_scc0 .LBB8_479
; %bb.475:
	global_load_dwordx2 v[2:3], v[0:1], off
	s_mov_b64 s[0:1], 0
	s_branch .LBB8_480
.LBB8_476:
	s_mov_b64 s[0:1], -1
                                        ; implicit-def: $vgpr2_vgpr3
	s_branch .LBB8_498
.LBB8_477:
	s_mov_b64 s[0:1], -1
                                        ; implicit-def: $vgpr2_vgpr3
	s_branch .LBB8_486
.LBB8_478:
	s_mov_b64 s[0:1], -1
                                        ; implicit-def: $vgpr2_vgpr3
	s_branch .LBB8_483
.LBB8_479:
	s_mov_b64 s[0:1], -1
                                        ; implicit-def: $vgpr2_vgpr3
.LBB8_480:
	s_andn2_b64 vcc, exec, s[0:1]
	s_cbranch_vccnz .LBB8_482
; %bb.481:
	global_load_dword v2, v[0:1], off
	s_waitcnt vmcnt(0)
	v_cvt_f64_f32_e32 v[2:3], v2
.LBB8_482:
	s_mov_b64 s[0:1], 0
.LBB8_483:
	s_andn2_b64 vcc, exec, s[0:1]
	s_cbranch_vccnz .LBB8_485
; %bb.484:
	global_load_dword v2, v[0:1], off
	s_waitcnt vmcnt(0)
	v_cvt_f32_f16_e32 v2, v2
	v_cvt_f64_f32_e32 v[2:3], v2
.LBB8_485:
	s_mov_b64 s[0:1], 0
.LBB8_486:
	s_andn2_b64 vcc, exec, s[0:1]
	s_cbranch_vccnz .LBB8_497
; %bb.487:
	s_cmp_lt_i32 s26, 6
	s_cbranch_scc1 .LBB8_490
; %bb.488:
	s_cmp_gt_i32 s26, 6
	s_cbranch_scc0 .LBB8_491
; %bb.489:
	global_load_dwordx2 v[2:3], v[0:1], off
	s_mov_b64 s[0:1], 0
	s_branch .LBB8_492
.LBB8_490:
	s_mov_b64 s[0:1], -1
                                        ; implicit-def: $vgpr2_vgpr3
	s_branch .LBB8_495
.LBB8_491:
	s_mov_b64 s[0:1], -1
                                        ; implicit-def: $vgpr2_vgpr3
.LBB8_492:
	s_andn2_b64 vcc, exec, s[0:1]
	s_cbranch_vccnz .LBB8_494
; %bb.493:
	global_load_dword v2, v[0:1], off
	s_waitcnt vmcnt(0)
	v_cvt_f64_f32_e32 v[2:3], v2
.LBB8_494:
	s_mov_b64 s[0:1], 0
.LBB8_495:
	s_andn2_b64 vcc, exec, s[0:1]
	s_cbranch_vccnz .LBB8_497
; %bb.496:
	global_load_ushort v2, v[0:1], off
	s_waitcnt vmcnt(0)
	v_cvt_f32_f16_e32 v2, v2
	v_cvt_f64_f32_e32 v[2:3], v2
.LBB8_497:
	s_mov_b64 s[0:1], 0
.LBB8_498:
	s_andn2_b64 vcc, exec, s[0:1]
	s_cbranch_vccnz .LBB8_518
; %bb.499:
	s_cmp_lt_i32 s26, 2
	s_cbranch_scc1 .LBB8_503
; %bb.500:
	s_cmp_lt_i32 s26, 3
	s_cbranch_scc1 .LBB8_504
; %bb.501:
	s_cmp_gt_i32 s26, 3
	s_cbranch_scc0 .LBB8_505
; %bb.502:
	global_load_dwordx2 v[2:3], v[0:1], off
	s_mov_b64 s[0:1], 0
	s_waitcnt vmcnt(0)
	v_cvt_f64_i32_e32 v[3:4], v3
	v_cvt_f64_u32_e32 v[5:6], v2
	v_ldexp_f64 v[3:4], v[3:4], 32
	v_add_f64 v[2:3], v[3:4], v[5:6]
	s_branch .LBB8_506
.LBB8_503:
	s_mov_b64 s[0:1], -1
                                        ; implicit-def: $vgpr2_vgpr3
	s_branch .LBB8_512
.LBB8_504:
	s_mov_b64 s[0:1], -1
                                        ; implicit-def: $vgpr2_vgpr3
	s_branch .LBB8_509
.LBB8_505:
	s_mov_b64 s[0:1], -1
                                        ; implicit-def: $vgpr2_vgpr3
.LBB8_506:
	s_andn2_b64 vcc, exec, s[0:1]
	s_cbranch_vccnz .LBB8_508
; %bb.507:
	global_load_dword v2, v[0:1], off
	s_waitcnt vmcnt(0)
	v_cvt_f64_i32_e32 v[2:3], v2
.LBB8_508:
	s_mov_b64 s[0:1], 0
.LBB8_509:
	s_andn2_b64 vcc, exec, s[0:1]
	s_cbranch_vccnz .LBB8_511
; %bb.510:
	global_load_sshort v2, v[0:1], off
	s_waitcnt vmcnt(0)
	v_cvt_f64_i32_e32 v[2:3], v2
.LBB8_511:
	s_mov_b64 s[0:1], 0
.LBB8_512:
	s_andn2_b64 vcc, exec, s[0:1]
	s_cbranch_vccnz .LBB8_518
; %bb.513:
	s_cmp_gt_i32 s26, 0
	s_cbranch_scc0 .LBB8_515
; %bb.514:
	global_load_sbyte v2, v[0:1], off
	s_mov_b64 s[0:1], 0
	s_waitcnt vmcnt(0)
	v_cvt_f64_i32_e32 v[2:3], v2
	s_branch .LBB8_516
.LBB8_515:
	s_mov_b64 s[0:1], -1
                                        ; implicit-def: $vgpr2_vgpr3
.LBB8_516:
	s_andn2_b64 vcc, exec, s[0:1]
	s_cbranch_vccnz .LBB8_518
; %bb.517:
	global_load_ubyte v0, v[0:1], off
	s_waitcnt vmcnt(0)
	v_cvt_f64_u32_e32 v[2:3], v0
.LBB8_518:
	s_branch .LBB8_270
.LBB8_519:
	s_mov_b64 s[24:25], 0
                                        ; implicit-def: $vgpr14
	s_mov_b64 s[0:1], s[6:7]
.LBB8_520:
	s_andn2_b64 s[20:21], s[6:7], exec
	s_and_b64 s[0:1], s[0:1], exec
	s_or_b64 s[20:21], s[20:21], s[0:1]
	s_andn2_b64 s[0:1], s[14:15], exec
	s_and_b64 s[18:19], s[18:19], exec
	s_or_b64 s[18:19], s[0:1], s[18:19]
	s_orn2_b64 s[0:1], s[24:25], exec
.LBB8_521:
	s_or_b64 exec, exec, s[22:23]
	s_mov_b64 s[24:25], 0
	s_mov_b64 s[26:27], 0
	;; [unrolled: 1-line block ×3, first 2 shown]
                                        ; implicit-def: $vgpr0_vgpr1
                                        ; implicit-def: $vgpr2_vgpr3
	s_and_saveexec_b64 s[22:23], s[0:1]
	s_cbranch_execz .LBB8_870
; %bb.522:
	v_cmp_gt_i32_e32 vcc, s38, v14
	s_mov_b64 s[34:35], -1
	s_mov_b64 s[0:1], s[18:19]
	s_mov_b64 s[28:29], s[20:21]
	s_and_saveexec_b64 s[24:25], vcc
	s_cbranch_execz .LBB8_784
; %bb.523:
	v_mul_lo_u32 v0, v14, s3
	v_mov_b32_e32 v1, s11
	s_and_b32 s34, 0xffff, s42
	s_cmp_lt_i32 s34, 11
	s_waitcnt vmcnt(0)
	v_ashrrev_i32_e32 v2, 31, v0
	v_add_co_u32_e32 v0, vcc, s10, v0
	v_addc_co_u32_e32 v1, vcc, v1, v2, vcc
	s_cbranch_scc1 .LBB8_530
; %bb.524:
	s_cmp_gt_i32 s34, 25
	s_cbranch_scc0 .LBB8_531
; %bb.525:
	s_cmp_gt_i32 s34, 28
	s_cbranch_scc0 .LBB8_532
	;; [unrolled: 3-line block ×4, first 2 shown]
; %bb.528:
	s_cmp_eq_u32 s34, 46
	s_mov_b64 s[28:29], 0
	s_cbranch_scc0 .LBB8_539
; %bb.529:
	global_load_dword v2, v[0:1], off
	s_mov_b64 s[0:1], -1
	s_waitcnt vmcnt(0)
	v_lshlrev_b32_e32 v2, 16, v2
	v_cvt_f64_f32_e32 v[2:3], v2
	s_branch .LBB8_540
.LBB8_530:
	s_mov_b64 s[28:29], -1
	s_mov_b64 s[0:1], 0
                                        ; implicit-def: $vgpr2_vgpr3
	s_mov_b64 s[26:27], s[18:19]
	s_branch .LBB8_605
.LBB8_531:
	s_mov_b64 s[28:29], -1
	s_mov_b64 s[0:1], 0
	s_mov_b64 s[26:27], s[18:19]
                                        ; implicit-def: $vgpr2_vgpr3
	s_branch .LBB8_571
.LBB8_532:
	s_mov_b64 s[28:29], -1
	s_mov_b64 s[0:1], 0
	s_mov_b64 s[26:27], s[18:19]
                                        ; implicit-def: $vgpr2_vgpr3
	s_branch .LBB8_550
.LBB8_533:
	s_mov_b64 s[28:29], -1
	s_mov_b64 s[0:1], 0
	s_mov_b64 s[26:27], s[18:19]
                                        ; implicit-def: $vgpr2_vgpr3
	s_branch .LBB8_545
.LBB8_534:
	s_andn2_saveexec_b64 s[26:27], s[26:27]
	s_cbranch_execz .LBB8_319
.LBB8_535:
	s_mov_b32 s30, 0x46000000
	v_add_f32_e64 v3, |v2|, s30
	v_and_b32_e32 v3, 0xff, v3
	v_cmp_ne_u32_e32 vcc, 0, v3
	s_andn2_b64 s[24:25], s[24:25], exec
	s_and_b64 s[30:31], vcc, exec
	s_or_b64 s[24:25], s[24:25], s[30:31]
	s_or_b64 exec, exec, s[26:27]
	v_mov_b32_e32 v6, 0
	s_and_saveexec_b64 s[26:27], s[24:25]
	s_cbranch_execnz .LBB8_320
	s_branch .LBB8_321
.LBB8_536:
	s_mov_b64 s[28:29], -1
	s_mov_b64 s[0:1], 0
	s_mov_b64 s[26:27], s[18:19]
                                        ; implicit-def: $vgpr2_vgpr3
	s_branch .LBB8_540
.LBB8_537:
	s_andn2_saveexec_b64 s[26:27], s[26:27]
	s_cbranch_execz .LBB8_332
.LBB8_538:
	s_mov_b32 s30, 0x42800000
	v_add_f32_e64 v3, |v2|, s30
	v_and_b32_e32 v3, 0xff, v3
	v_cmp_ne_u32_e32 vcc, 0, v3
	s_andn2_b64 s[24:25], s[24:25], exec
	s_and_b64 s[30:31], vcc, exec
	s_or_b64 s[24:25], s[24:25], s[30:31]
	s_or_b64 exec, exec, s[26:27]
	v_mov_b32_e32 v6, 0
	s_and_saveexec_b64 s[26:27], s[24:25]
	s_cbranch_execnz .LBB8_333
	s_branch .LBB8_334
.LBB8_539:
	s_mov_b64 s[26:27], -1
                                        ; implicit-def: $vgpr2_vgpr3
	s_mov_b64 s[0:1], 0
.LBB8_540:
	s_and_b64 vcc, exec, s[28:29]
	s_cbranch_vccz .LBB8_544
; %bb.541:
	s_cmp_eq_u32 s34, 44
	s_cbranch_scc0 .LBB8_543
; %bb.542:
	global_load_ubyte v4, v[0:1], off
	s_movk_i32 s26, 0xff
	v_bfrev_b32_e32 v5, 4
	v_mov_b32_e32 v6, 0x7ff80000
	v_bfrev_b32_e32 v7, 28
	s_mov_b64 s[0:1], -1
	s_waitcnt vmcnt(0)
	v_lshlrev_b32_e32 v2, 23, v4
	v_cvt_f64_f32_e32 v[2:3], v2
	v_cmp_ne_u32_e32 vcc, s26, v4
	s_mov_b64 s[26:27], 0
	v_cndmask_b32_e32 v2, v5, v2, vcc
	v_cndmask_b32_e32 v3, v6, v3, vcc
	v_cmp_ne_u32_e32 vcc, 0, v4
	v_cndmask_b32_e32 v3, v7, v3, vcc
	v_cndmask_b32_e32 v2, 0, v2, vcc
	s_branch .LBB8_544
.LBB8_543:
	s_mov_b64 s[26:27], -1
                                        ; implicit-def: $vgpr2_vgpr3
.LBB8_544:
	s_mov_b64 s[28:29], 0
.LBB8_545:
	s_and_b64 vcc, exec, s[28:29]
	s_cbranch_vccz .LBB8_549
; %bb.546:
	s_cmp_eq_u32 s34, 29
	s_cbranch_scc0 .LBB8_548
; %bb.547:
	global_load_dwordx2 v[2:3], v[0:1], off
	s_mov_b64 s[0:1], -1
	s_mov_b64 s[26:27], 0
	s_mov_b64 s[28:29], 0
	s_waitcnt vmcnt(0)
	v_cvt_f64_u32_e32 v[3:4], v3
	v_cvt_f64_u32_e32 v[5:6], v2
	v_ldexp_f64 v[3:4], v[3:4], 32
	v_add_f64 v[2:3], v[3:4], v[5:6]
	s_branch .LBB8_550
.LBB8_548:
	s_mov_b64 s[26:27], -1
                                        ; implicit-def: $vgpr2_vgpr3
.LBB8_549:
	s_mov_b64 s[28:29], 0
.LBB8_550:
	s_and_b64 vcc, exec, s[28:29]
	s_cbranch_vccz .LBB8_570
; %bb.551:
	s_cmp_lt_i32 s34, 27
	s_cbranch_scc1 .LBB8_554
; %bb.552:
	s_cmp_gt_i32 s34, 27
	s_cbranch_scc0 .LBB8_555
; %bb.553:
	global_load_dword v2, v[0:1], off
	s_mov_b64 s[0:1], 0
	s_waitcnt vmcnt(0)
	v_cvt_f64_u32_e32 v[2:3], v2
	s_branch .LBB8_556
.LBB8_554:
	s_mov_b64 s[0:1], -1
                                        ; implicit-def: $vgpr2_vgpr3
	s_branch .LBB8_559
.LBB8_555:
	s_mov_b64 s[0:1], -1
                                        ; implicit-def: $vgpr2_vgpr3
.LBB8_556:
	s_andn2_b64 vcc, exec, s[0:1]
	s_cbranch_vccnz .LBB8_558
; %bb.557:
	global_load_ushort v2, v[0:1], off
	s_waitcnt vmcnt(0)
	v_cvt_f64_u32_e32 v[2:3], v2
.LBB8_558:
	s_mov_b64 s[0:1], 0
.LBB8_559:
	s_andn2_b64 vcc, exec, s[0:1]
	s_cbranch_vccnz .LBB8_569
; %bb.560:
	global_load_ubyte v4, v[0:1], off
	s_movk_i32 s0, 0x7f
	s_waitcnt vmcnt(0)
	v_cmp_lt_i16_e32 vcc, s0, v4
	s_mov_b64 s[0:1], 0
	s_and_saveexec_b64 s[28:29], vcc
	s_xor_b64 s[28:29], exec, s[28:29]
	s_cbranch_execz .LBB8_564
; %bb.561:
	s_movk_i32 s0, 0x80
	v_cmp_eq_u16_e32 vcc, s0, v4
	s_mov_b64 s[0:1], -1
	s_and_saveexec_b64 s[30:31], vcc
; %bb.562:
	s_xor_b64 s[0:1], exec, -1
; %bb.563:
	s_or_b64 exec, exec, s[30:31]
	s_and_b64 s[0:1], s[0:1], exec
.LBB8_564:
	s_or_saveexec_b64 s[28:29], s[28:29]
	v_bfrev_b32_e32 v2, 4
	v_mov_b32_e32 v3, 0x7ff80000
	s_xor_b64 exec, exec, s[28:29]
; %bb.565:
	v_cmp_ne_u16_e32 vcc, 0, v4
	v_mov_b32_e32 v2, 0
	s_andn2_b64 s[0:1], s[0:1], exec
	s_and_b64 s[30:31], vcc, exec
	v_mov_b32_e32 v3, 0
	s_or_b64 s[0:1], s[0:1], s[30:31]
; %bb.566:
	s_or_b64 exec, exec, s[28:29]
	s_and_saveexec_b64 s[28:29], s[0:1]
	s_cbranch_execz .LBB8_568
; %bb.567:
	v_and_b32_e32 v3, 0xffff, v4
	v_lshlrev_b32_e32 v2, 24, v4
	v_and_b32_e32 v4, 7, v3
	v_ffbh_u32_e32 v6, v4
	v_min_u32_e32 v6, 32, v6
	v_subrev_u32_e32 v7, 28, v6
	v_bfe_u32 v5, v3, 3, 4
	v_lshlrev_b32_e32 v3, v7, v3
	v_sub_u32_e32 v6, 29, v6
	v_and_b32_e32 v3, 7, v3
	v_cmp_eq_u32_e32 vcc, 0, v5
	v_cndmask_b32_e32 v5, v5, v6, vcc
	v_cndmask_b32_e32 v3, v4, v3, vcc
	v_mov_b32_e32 v4, 0x3b800000
	v_lshlrev_b32_e32 v3, 20, v3
	v_and_b32_e32 v2, 0x80000000, v2
	v_lshl_add_u32 v4, v5, 23, v4
	v_or3_b32 v2, v2, v4, v3
	v_cvt_f64_f32_e32 v[2:3], v2
.LBB8_568:
	s_or_b64 exec, exec, s[28:29]
.LBB8_569:
	s_mov_b64 s[0:1], -1
.LBB8_570:
	s_mov_b64 s[28:29], 0
.LBB8_571:
	s_and_b64 vcc, exec, s[28:29]
	s_cbranch_vccz .LBB8_604
; %bb.572:
	s_cmp_gt_i32 s34, 22
	s_cbranch_scc0 .LBB8_584
; %bb.573:
	s_cmp_lt_i32 s34, 24
	s_cbranch_scc1 .LBB8_585
; %bb.574:
	s_cmp_gt_i32 s34, 24
	s_cbranch_scc0 .LBB8_586
; %bb.575:
	global_load_ubyte v4, v[0:1], off
	s_movk_i32 s0, 0x7f
	s_waitcnt vmcnt(0)
	v_cmp_lt_i16_e32 vcc, s0, v4
	s_mov_b64 s[0:1], 0
	s_and_saveexec_b64 s[28:29], vcc
	s_xor_b64 s[28:29], exec, s[28:29]
	s_cbranch_execz .LBB8_579
; %bb.576:
	s_movk_i32 s0, 0x80
	v_cmp_eq_u16_e32 vcc, s0, v4
	s_mov_b64 s[0:1], -1
	s_and_saveexec_b64 s[30:31], vcc
; %bb.577:
	s_xor_b64 s[0:1], exec, -1
; %bb.578:
	s_or_b64 exec, exec, s[30:31]
	s_and_b64 s[0:1], s[0:1], exec
.LBB8_579:
	s_or_saveexec_b64 s[28:29], s[28:29]
	v_bfrev_b32_e32 v2, 4
	v_mov_b32_e32 v3, 0x7ff80000
	s_xor_b64 exec, exec, s[28:29]
; %bb.580:
	v_cmp_ne_u16_e32 vcc, 0, v4
	v_mov_b32_e32 v2, 0
	s_andn2_b64 s[0:1], s[0:1], exec
	s_and_b64 s[30:31], vcc, exec
	v_mov_b32_e32 v3, 0
	s_or_b64 s[0:1], s[0:1], s[30:31]
; %bb.581:
	s_or_b64 exec, exec, s[28:29]
	s_and_saveexec_b64 s[28:29], s[0:1]
	s_cbranch_execz .LBB8_583
; %bb.582:
	v_and_b32_e32 v3, 0xffff, v4
	v_lshlrev_b32_e32 v2, 24, v4
	v_and_b32_e32 v4, 3, v3
	v_ffbh_u32_e32 v6, v4
	v_min_u32_e32 v6, 32, v6
	v_subrev_u32_e32 v7, 29, v6
	v_bfe_u32 v5, v3, 2, 5
	v_lshlrev_b32_e32 v3, v7, v3
	v_sub_u32_e32 v6, 30, v6
	v_and_b32_e32 v3, 3, v3
	v_cmp_eq_u32_e32 vcc, 0, v5
	v_cndmask_b32_e32 v5, v5, v6, vcc
	v_cndmask_b32_e32 v3, v4, v3, vcc
	v_mov_b32_e32 v4, 0x37800000
	v_lshlrev_b32_e32 v3, 21, v3
	v_and_b32_e32 v2, 0x80000000, v2
	v_lshl_add_u32 v4, v5, 23, v4
	v_or3_b32 v2, v2, v4, v3
	v_cvt_f64_f32_e32 v[2:3], v2
.LBB8_583:
	s_or_b64 exec, exec, s[28:29]
	s_mov_b64 s[0:1], 0
	s_branch .LBB8_587
.LBB8_584:
	s_mov_b64 s[28:29], -1
                                        ; implicit-def: $vgpr2_vgpr3
	s_branch .LBB8_593
.LBB8_585:
	s_mov_b64 s[0:1], -1
                                        ; implicit-def: $vgpr2_vgpr3
	s_branch .LBB8_590
.LBB8_586:
	s_mov_b64 s[0:1], -1
                                        ; implicit-def: $vgpr2_vgpr3
.LBB8_587:
	s_and_b64 vcc, exec, s[0:1]
	s_cbranch_vccz .LBB8_589
; %bb.588:
	global_load_ubyte v2, v[0:1], off
	s_mov_b32 s0, 0x7f800000
	s_waitcnt vmcnt(0)
	v_lshlrev_b32_e32 v2, 24, v2
	v_and_b32_e32 v3, 0x7f000000, v2
	v_ffbh_u32_e32 v4, v3
	v_min_u32_e32 v4, 32, v4
	v_sub_u32_e64 v4, v4, 4 clamp
	v_lshlrev_b32_e32 v6, v4, v3
	v_lshlrev_b32_e32 v4, 23, v4
	v_lshrrev_b32_e32 v6, 4, v6
	v_add_u32_e32 v5, 0x1000000, v3
	v_sub_u32_e32 v4, v6, v4
	v_ashrrev_i32_e32 v5, 8, v5
	v_add_u32_e32 v4, 0x3c000000, v4
	v_and_or_b32 v4, v5, s0, v4
	v_cmp_ne_u32_e32 vcc, 0, v3
	v_cndmask_b32_e32 v3, 0, v4, vcc
	s_brev_b32 s0, 1
	v_and_or_b32 v2, v2, s0, v3
	v_cvt_f64_f32_e32 v[2:3], v2
.LBB8_589:
	s_mov_b64 s[0:1], 0
.LBB8_590:
	s_andn2_b64 vcc, exec, s[0:1]
	s_cbranch_vccnz .LBB8_592
; %bb.591:
	global_load_ubyte v2, v[0:1], off
	s_movk_i32 s0, 0x7f00
	s_brev_b32 s1, 16
	s_waitcnt vmcnt(0)
	v_lshlrev_b16_e32 v3, 8, v2
	v_lshlrev_b32_e32 v2, 25, v2
	v_lshrrev_b32_e32 v4, 4, v2
	v_and_or_b32 v5, v3, s0, 0.5
	v_or_b32_e32 v4, 0x70000000, v4
	v_add_f32_e32 v5, -0.5, v5
	v_mul_f32_e32 v4, 0x7800000, v4
	v_cmp_gt_u32_e32 vcc, s1, v2
	v_bfe_i32 v3, v3, 0, 16
	v_cndmask_b32_e32 v2, v4, v5, vcc
	s_brev_b32 s0, 1
	v_and_or_b32 v2, v3, s0, v2
	v_cvt_f64_f32_e32 v[2:3], v2
.LBB8_592:
	s_mov_b64 s[28:29], 0
	s_mov_b64 s[0:1], -1
.LBB8_593:
	s_andn2_b64 vcc, exec, s[28:29]
	s_cbranch_vccnz .LBB8_604
; %bb.594:
	s_cmp_gt_i32 s34, 14
	s_cbranch_scc0 .LBB8_597
; %bb.595:
	s_cmp_eq_u32 s34, 15
	s_cbranch_scc0 .LBB8_598
; %bb.596:
	global_load_ushort v2, v[0:1], off
	s_mov_b64 s[0:1], -1
	s_mov_b64 s[26:27], 0
	s_waitcnt vmcnt(0)
	v_lshlrev_b32_e32 v2, 16, v2
	v_cvt_f64_f32_e32 v[2:3], v2
	s_branch .LBB8_599
.LBB8_597:
	s_mov_b64 s[28:29], -1
                                        ; implicit-def: $vgpr2_vgpr3
	s_branch .LBB8_600
.LBB8_598:
	s_mov_b64 s[26:27], -1
                                        ; implicit-def: $vgpr2_vgpr3
.LBB8_599:
	s_mov_b64 s[28:29], 0
.LBB8_600:
	s_and_b64 vcc, exec, s[28:29]
	s_cbranch_vccz .LBB8_604
; %bb.601:
	s_cmp_eq_u32 s34, 11
	s_cbranch_scc0 .LBB8_603
; %bb.602:
	global_load_ubyte v3, v[0:1], off
	v_mov_b32_e32 v4, 0x3ff00000
	v_mov_b32_e32 v2, 0
	s_mov_b64 s[0:1], -1
	s_mov_b64 s[26:27], 0
	s_waitcnt vmcnt(0)
	v_cmp_ne_u16_e32 vcc, 0, v3
	v_cndmask_b32_e32 v3, 0, v4, vcc
	s_branch .LBB8_604
.LBB8_603:
	s_mov_b64 s[26:27], -1
                                        ; implicit-def: $vgpr2_vgpr3
.LBB8_604:
	s_mov_b64 s[28:29], 0
.LBB8_605:
	s_and_b64 vcc, exec, s[28:29]
	s_cbranch_vccz .LBB8_654
; %bb.606:
	s_cmp_lt_i32 s34, 5
	s_cbranch_scc1 .LBB8_611
; %bb.607:
	s_cmp_lt_i32 s34, 8
	s_cbranch_scc1 .LBB8_612
	;; [unrolled: 3-line block ×3, first 2 shown]
; %bb.609:
	s_cmp_gt_i32 s34, 9
	s_cbranch_scc0 .LBB8_614
; %bb.610:
	global_load_dwordx2 v[2:3], v[0:1], off
	s_mov_b64 s[0:1], 0
	s_branch .LBB8_615
.LBB8_611:
	s_mov_b64 s[0:1], -1
                                        ; implicit-def: $vgpr2_vgpr3
	s_branch .LBB8_633
.LBB8_612:
	s_mov_b64 s[0:1], -1
                                        ; implicit-def: $vgpr2_vgpr3
	s_branch .LBB8_621
.LBB8_613:
	s_mov_b64 s[0:1], -1
                                        ; implicit-def: $vgpr2_vgpr3
	s_branch .LBB8_618
.LBB8_614:
	s_mov_b64 s[0:1], -1
                                        ; implicit-def: $vgpr2_vgpr3
.LBB8_615:
	s_andn2_b64 vcc, exec, s[0:1]
	s_cbranch_vccnz .LBB8_617
; %bb.616:
	global_load_dword v2, v[0:1], off
	s_waitcnt vmcnt(0)
	v_cvt_f64_f32_e32 v[2:3], v2
.LBB8_617:
	s_mov_b64 s[0:1], 0
.LBB8_618:
	s_andn2_b64 vcc, exec, s[0:1]
	s_cbranch_vccnz .LBB8_620
; %bb.619:
	global_load_dword v2, v[0:1], off
	s_waitcnt vmcnt(0)
	v_cvt_f32_f16_e32 v2, v2
	v_cvt_f64_f32_e32 v[2:3], v2
.LBB8_620:
	s_mov_b64 s[0:1], 0
.LBB8_621:
	s_andn2_b64 vcc, exec, s[0:1]
	s_cbranch_vccnz .LBB8_632
; %bb.622:
	s_cmp_lt_i32 s34, 6
	s_cbranch_scc1 .LBB8_625
; %bb.623:
	s_cmp_gt_i32 s34, 6
	s_cbranch_scc0 .LBB8_626
; %bb.624:
	global_load_dwordx2 v[2:3], v[0:1], off
	s_mov_b64 s[0:1], 0
	s_branch .LBB8_627
.LBB8_625:
	s_mov_b64 s[0:1], -1
                                        ; implicit-def: $vgpr2_vgpr3
	s_branch .LBB8_630
.LBB8_626:
	s_mov_b64 s[0:1], -1
                                        ; implicit-def: $vgpr2_vgpr3
.LBB8_627:
	s_andn2_b64 vcc, exec, s[0:1]
	s_cbranch_vccnz .LBB8_629
; %bb.628:
	global_load_dword v2, v[0:1], off
	s_waitcnt vmcnt(0)
	v_cvt_f64_f32_e32 v[2:3], v2
.LBB8_629:
	s_mov_b64 s[0:1], 0
.LBB8_630:
	s_andn2_b64 vcc, exec, s[0:1]
	s_cbranch_vccnz .LBB8_632
; %bb.631:
	global_load_ushort v2, v[0:1], off
	s_waitcnt vmcnt(0)
	v_cvt_f32_f16_e32 v2, v2
	v_cvt_f64_f32_e32 v[2:3], v2
.LBB8_632:
	s_mov_b64 s[0:1], 0
.LBB8_633:
	s_andn2_b64 vcc, exec, s[0:1]
	s_cbranch_vccnz .LBB8_653
; %bb.634:
	s_cmp_lt_i32 s34, 2
	s_cbranch_scc1 .LBB8_638
; %bb.635:
	s_cmp_lt_i32 s34, 3
	s_cbranch_scc1 .LBB8_639
; %bb.636:
	s_cmp_gt_i32 s34, 3
	s_cbranch_scc0 .LBB8_640
; %bb.637:
	global_load_dwordx2 v[2:3], v[0:1], off
	s_mov_b64 s[0:1], 0
	s_waitcnt vmcnt(0)
	v_cvt_f64_i32_e32 v[3:4], v3
	v_cvt_f64_u32_e32 v[5:6], v2
	v_ldexp_f64 v[3:4], v[3:4], 32
	v_add_f64 v[2:3], v[3:4], v[5:6]
	s_branch .LBB8_641
.LBB8_638:
	s_mov_b64 s[0:1], -1
                                        ; implicit-def: $vgpr2_vgpr3
	s_branch .LBB8_647
.LBB8_639:
	s_mov_b64 s[0:1], -1
                                        ; implicit-def: $vgpr2_vgpr3
	s_branch .LBB8_644
.LBB8_640:
	s_mov_b64 s[0:1], -1
                                        ; implicit-def: $vgpr2_vgpr3
.LBB8_641:
	s_andn2_b64 vcc, exec, s[0:1]
	s_cbranch_vccnz .LBB8_643
; %bb.642:
	global_load_dword v2, v[0:1], off
	s_waitcnt vmcnt(0)
	v_cvt_f64_i32_e32 v[2:3], v2
.LBB8_643:
	s_mov_b64 s[0:1], 0
.LBB8_644:
	s_andn2_b64 vcc, exec, s[0:1]
	s_cbranch_vccnz .LBB8_646
; %bb.645:
	global_load_sshort v2, v[0:1], off
	s_waitcnt vmcnt(0)
	v_cvt_f64_i32_e32 v[2:3], v2
.LBB8_646:
	s_mov_b64 s[0:1], 0
.LBB8_647:
	s_andn2_b64 vcc, exec, s[0:1]
	s_cbranch_vccnz .LBB8_653
; %bb.648:
	s_cmp_gt_i32 s34, 0
	s_cbranch_scc0 .LBB8_650
; %bb.649:
	global_load_sbyte v2, v[0:1], off
	s_mov_b64 s[0:1], 0
	s_waitcnt vmcnt(0)
	v_cvt_f64_i32_e32 v[2:3], v2
	s_branch .LBB8_651
.LBB8_650:
	s_mov_b64 s[0:1], -1
                                        ; implicit-def: $vgpr2_vgpr3
.LBB8_651:
	s_andn2_b64 vcc, exec, s[0:1]
	s_cbranch_vccnz .LBB8_653
; %bb.652:
	global_load_ubyte v0, v[0:1], off
	s_waitcnt vmcnt(0)
	v_cvt_f64_u32_e32 v[2:3], v0
.LBB8_653:
	s_mov_b64 s[0:1], -1
.LBB8_654:
	s_andn2_b64 vcc, exec, s[0:1]
	s_cbranch_vccnz .LBB8_666
; %bb.655:
	s_mov_b32 s0, 0
	s_mov_b32 s1, 0x40200000
	s_waitcnt vmcnt(0)
	v_cmp_le_f64_e64 s[0:1], |v[2:3]|, s[0:1]
                                        ; implicit-def: $vgpr0_vgpr1
	s_and_saveexec_b64 s[28:29], s[0:1]
	s_xor_b64 s[0:1], exec, s[28:29]
	s_cbranch_execz .LBB8_657
; %bb.656:
	v_fma_f64 v[0:1], |v[2:3]|, 0.5, -2.0
	v_mov_b32_e32 v4, 0x977da589
	v_mov_b32_e32 v5, 0x3c833362
	s_mov_b32 s29, 0xbc545cb7
	s_mov_b32 s28, 0x2134d0ef
	;; [unrolled: 1-line block ×4, first 2 shown]
	v_mov_b32_e32 v10, 0xfca7ab0c
	v_fma_f64 v[4:5], v[0:1], s[28:29], v[4:5]
	s_mov_b32 s29, 0x3c545cb7
	v_mov_b32_e32 v11, 0x3e928af3
	v_fma_f64 v[6:7], v[0:1], v[4:5], s[28:29]
	s_mov_b32 s28, 0x721ebbb4
	s_mov_b32 s29, 0xbcb184eb
	v_add_f64 v[6:7], v[6:7], s[28:29]
	s_mov_b32 s28, 0x93f65eba
	s_mov_b32 s29, 0x3cdee6d8
	v_fma_f64 v[4:5], v[0:1], v[6:7], -v[4:5]
	v_add_f64 v[4:5], v[4:5], s[28:29]
	s_mov_b32 s28, 0xc297fbeb
	s_mov_b32 s29, 0xbd0a5022
	v_fma_f64 v[6:7], v[0:1], v[4:5], -v[6:7]
	;; [unrolled: 4-line block ×20, first 2 shown]
	v_add_f64 v[6:7], v[6:7], s[28:29]
	s_mov_b32 s28, 0x652b82fe
	s_mov_b32 s29, 0x3ff71547
	v_mul_f64 v[8:9], |v[2:3]|, s[28:29]
	s_mov_b32 s28, 0xf3dde3dd
	s_mov_b32 s29, 0x3f859961
	v_fma_f64 v[4:5], v[0:1], v[6:7], -v[4:5]
	v_rndne_f64_e32 v[8:9], v[8:9]
	v_add_f64 v[4:5], v[4:5], s[28:29]
	s_mov_b32 s28, 0xfefa39ef
	s_mov_b32 s29, 0xbfe62e42
	v_fma_f64 v[2:3], v[8:9], s[28:29], |v[2:3]|
	s_mov_b32 s28, 0xf121b6f0
	s_mov_b32 s29, 0xbf984e9e
	v_fma_f64 v[6:7], v[0:1], v[4:5], -v[6:7]
	v_fma_f64 v[2:3], v[8:9], s[30:31], v[2:3]
	s_mov_b32 s30, 0x623fde64
	s_mov_b32 s31, 0x3ec71dee
	v_add_f64 v[6:7], v[6:7], s[28:29]
	s_mov_b32 s28, 0x6a5dcb37
	s_mov_b32 s29, 0x3e5ade15
	v_fma_f64 v[10:11], v[2:3], s[28:29], v[10:11]
	s_mov_b32 s28, 0xcea8a32d
	s_mov_b32 s29, 0x3fa93e8a
	v_fma_f64 v[4:5], v[0:1], v[6:7], -v[4:5]
	v_fma_f64 v[10:11], v[2:3], v[10:11], s[30:31]
	s_mov_b32 s30, 0x14761f6e
	s_mov_b32 s31, 0x3f2a01a0
	v_add_f64 v[4:5], v[4:5], s[28:29]
	s_mov_b32 s28, 0x7c89e6b0
	s_mov_b32 s29, 0x3efa0199
	v_fma_f64 v[10:11], v[2:3], v[10:11], s[28:29]
	;; [unrolled: 10-line block ×4, first 2 shown]
	s_mov_b32 s28, 0xc057cd8d
	s_mov_b32 s29, 0xbfd37feb
	v_fma_f64 v[6:7], v[0:1], v[4:5], -v[6:7]
	v_fma_f64 v[10:11], v[2:3], v[10:11], s[30:31]
	v_add_f64 v[6:7], v[6:7], s[28:29]
	s_mov_b32 s28, 11
	s_mov_b32 s29, 0x3fe00000
	v_fma_f64 v[10:11], v[2:3], v[10:11], s[28:29]
	s_mov_b32 s28, 0x9035a22a
	s_mov_b32 s29, 0x3fe5a84e
	v_fma_f64 v[0:1], v[0:1], v[6:7], -v[4:5]
	v_fma_f64 v[6:7], v[2:3], v[10:11], 1.0
	v_add_f64 v[0:1], v[0:1], s[28:29]
	v_fma_f64 v[2:3], v[2:3], v[6:7], 1.0
	v_add_f64 v[0:1], v[0:1], -v[4:5]
	v_cvt_i32_f64_e32 v4, v[8:9]
	v_ldexp_f64 v[2:3], v[2:3], v4
	v_mul_f64 v[0:1], v[0:1], 0.5
	v_mul_f64 v[0:1], v[2:3], v[0:1]
                                        ; implicit-def: $vgpr2_vgpr3
.LBB8_657:
	s_andn2_saveexec_b64 s[28:29], s[0:1]
	s_cbranch_execz .LBB8_659
; %bb.658:
	s_mov_b32 s0, 0
	v_and_b32_e32 v1, 0x7fffffff, v3
	v_mov_b32_e32 v0, v2
	s_mov_b32 s1, 0x40400000
	v_div_scale_f64 v[4:5], s[30:31], v[0:1], v[0:1], s[0:1]
	v_div_scale_f64 v[0:1], vcc, s[0:1], v[0:1], s[0:1]
	s_mov_b32 s30, 0x3b39803f
	s_mov_b32 s31, 0xbc7abc9e
	v_mov_b32_e32 v12, 0xfca7ab0c
	v_mov_b32_e32 v13, 0x3e928af3
	s_mov_b32 s34, 0
	s_brev_b32 s35, 8
	v_mov_b32_e32 v15, 0x100
	v_rcp_f64_e32 v[6:7], v[4:5]
	v_fma_f64 v[8:9], -v[4:5], v[6:7], 1.0
	v_fma_f64 v[6:7], v[6:7], v[8:9], v[6:7]
	v_fma_f64 v[8:9], -v[4:5], v[6:7], 1.0
	v_fma_f64 v[6:7], v[6:7], v[8:9], v[6:7]
	v_mul_f64 v[8:9], v[0:1], v[6:7]
	v_fma_f64 v[0:1], -v[4:5], v[8:9], v[0:1]
	v_mov_b32_e32 v4, 0x66119130
	v_mov_b32_e32 v5, 0xbc5646da
	v_div_fmas_f64 v[0:1], v[0:1], v[6:7], v[8:9]
	v_cmp_lt_f64_e64 vcc, |v[2:3]|, s[34:35]
	v_cndmask_b32_e32 v15, 0, v15, vcc
	v_ldexp_f64 v[15:16], |v[2:3]|, v15
	v_div_fixup_f64 v[0:1], v[0:1], |v[2:3]|, s[0:1]
	s_mov_b32 s1, 0xbc60adb7
	s_mov_b32 s0, 0x54ca8b19
	v_rsq_f64_e32 v[17:18], v[15:16]
	v_add_f64 v[0:1], v[0:1], -2.0
	v_fma_f64 v[4:5], v[0:1], s[0:1], v[4:5]
	s_mov_b32 s1, 0x3c60adb7
	v_mul_f64 v[19:20], v[15:16], v[17:18]
	v_mul_f64 v[17:18], v[17:18], 0.5
	v_fma_f64 v[6:7], v[0:1], v[4:5], s[0:1]
	s_mov_b32 s0, 0x12d98421
	s_mov_b32 s1, 0x3c89be18
	v_fma_f64 v[21:22], -v[17:18], v[19:20], 0.5
	v_add_f64 v[6:7], v[6:7], s[0:1]
	s_mov_b32 s0, 0x76041cd
	s_mov_b32 s1, 0x3c83f3dd
	v_fma_f64 v[19:20], v[19:20], v[21:22], v[19:20]
	v_fma_f64 v[17:18], v[17:18], v[21:22], v[17:18]
	v_fma_f64 v[4:5], v[0:1], v[6:7], -v[4:5]
	v_fma_f64 v[21:22], -v[19:20], v[19:20], v[15:16]
	v_add_f64 v[4:5], v[4:5], s[0:1]
	s_mov_b32 s0, 0xabd21fe4
	s_mov_b32 s1, 0xbcb4600b
	v_fma_f64 v[6:7], v[0:1], v[4:5], -v[6:7]
	v_add_f64 v[6:7], v[6:7], s[0:1]
	s_mov_b32 s0, 0xd908de38
	s_mov_b32 s1, 0xbcb8aee7
	v_fma_f64 v[4:5], v[0:1], v[6:7], -v[4:5]
	;; [unrolled: 4-line block ×14, first 2 shown]
	v_add_f64 v[8:9], v[4:5], s[0:1]
	s_mov_b32 s0, 0x652b82fe
	s_mov_b32 s1, 0x3ff71547
	v_mul_f64 v[4:5], |v[2:3]|, s[0:1]
	s_mov_b32 s0, 0xa9225b87
	s_mov_b32 s1, 0x3e2d2c64
	v_fma_f64 v[6:7], v[0:1], v[8:9], -v[6:7]
	v_rndne_f64_e32 v[4:5], v[4:5]
	v_add_f64 v[10:11], v[6:7], s[0:1]
	s_mov_b32 s0, 0xfefa39ef
	s_mov_b32 s1, 0xbfe62e42
	v_fma_f64 v[6:7], v[4:5], s[0:1], |v[2:3]|
	s_mov_b32 s0, 0x80d6d56d
	s_mov_b32 s1, 0x3e585692
	v_fma_f64 v[8:9], v[0:1], v[10:11], -v[8:9]
	v_fma_f64 v[6:7], v[4:5], s[30:31], v[6:7]
	s_mov_b32 s30, 0x623fde64
	s_mov_b32 s31, 0x3ec71dee
	v_add_f64 v[8:9], v[8:9], s[0:1]
	s_mov_b32 s0, 0x6a5dcb37
	s_mov_b32 s1, 0x3e5ade15
	v_fma_f64 v[12:13], v[6:7], s[0:1], v[12:13]
	s_mov_b32 s0, 0xd9cd616e
	s_mov_b32 s1, 0x3e8b8007
	v_fma_f64 v[10:11], v[0:1], v[8:9], -v[10:11]
	v_fma_f64 v[12:13], v[6:7], v[12:13], s[30:31]
	s_mov_b32 s30, 0x14761f6e
	s_mov_b32 s31, 0x3f2a01a0
	v_add_f64 v[10:11], v[10:11], s[0:1]
	s_mov_b32 s0, 0x7c89e6b0
	s_mov_b32 s1, 0x3efa0199
	v_fma_f64 v[12:13], v[6:7], v[12:13], s[0:1]
	s_mov_b32 s0, 0xc101c586
	s_mov_b32 s1, 0x3ec8412b
	v_fma_f64 v[8:9], v[0:1], v[10:11], -v[8:9]
	v_fma_f64 v[12:13], v[6:7], v[12:13], s[30:31]
	s_mov_b32 s30, 0x11122322
	s_mov_b32 s31, 0x3f811111
	v_add_f64 v[8:9], v[8:9], s[0:1]
	s_mov_b32 s0, 0x1852b7b0
	s_mov_b32 s1, 0x3f56c16c
	v_fma_f64 v[12:13], v[6:7], v[12:13], s[0:1]
	s_mov_b32 s0, 0x78999e52
	s_mov_b32 s1, 0x3f120fa3
	v_fma_f64 v[10:11], v[0:1], v[8:9], -v[10:11]
	v_fma_f64 v[12:13], v[6:7], v[12:13], s[30:31]
	s_mov_b32 s30, 0x55555511
	s_mov_b32 s31, 0x3fc55555
	v_add_f64 v[10:11], v[10:11], s[0:1]
	s_mov_b32 s0, 0x555502a1
	s_mov_b32 s1, 0x3fa55555
	v_fma_f64 v[12:13], v[6:7], v[12:13], s[0:1]
	s_mov_b32 s0, 0xa2e59049
	s_mov_b32 s1, 0x3f6b998c
	v_fma_f64 v[8:9], v[0:1], v[10:11], -v[8:9]
	v_fma_f64 v[12:13], v[6:7], v[12:13], s[30:31]
	v_add_f64 v[8:9], v[8:9], s[0:1]
	s_mov_b32 s0, 11
	s_mov_b32 s1, 0x3fe00000
	v_fma_f64 v[12:13], v[6:7], v[12:13], s[0:1]
	s_mov_b32 s0, 0xaca809cb
	s_mov_b32 s1, 0x3fe9be62
	v_fma_f64 v[0:1], v[0:1], v[8:9], -v[10:11]
	v_fma_f64 v[8:9], v[21:22], v[17:18], v[19:20]
	v_fma_f64 v[12:13], v[6:7], v[12:13], 1.0
	v_add_f64 v[0:1], v[0:1], s[0:1]
	v_fma_f64 v[19:20], -v[8:9], v[8:9], v[15:16]
	s_mov_b32 s0, 0
	v_fma_f64 v[6:7], v[6:7], v[12:13], 1.0
	s_mov_b32 s1, 0x40900000
	v_cmp_ngt_f64_e64 s[0:1], |v[2:3]|, s[0:1]
	v_mov_b32_e32 v2, 0xffffff80
	v_cndmask_b32_e32 v2, 0, v2, vcc
	v_add_f64 v[0:1], v[0:1], -v[10:11]
	v_cvt_i32_f64_e32 v10, v[4:5]
	v_fma_f64 v[4:5], v[19:20], v[17:18], v[8:9]
	v_mov_b32_e32 v8, 0x7ff00000
	v_mov_b32_e32 v9, 0x260
	v_ldexp_f64 v[6:7], v[6:7], v10
	v_cmp_class_f64_e32 vcc, v[15:16], v9
	v_mul_f64 v[0:1], v[0:1], 0.5
	v_ldexp_f64 v[2:3], v[4:5], v2
	v_cndmask_b32_e64 v5, v8, v7, s[0:1]
	v_cndmask_b32_e64 v4, 0, v6, s[0:1]
	v_mul_f64 v[0:1], v[4:5], v[0:1]
	v_cndmask_b32_e32 v3, v3, v16, vcc
	v_cndmask_b32_e32 v2, v2, v15, vcc
	v_div_scale_f64 v[4:5], s[0:1], v[2:3], v[2:3], v[0:1]
	v_div_scale_f64 v[10:11], vcc, v[0:1], v[2:3], v[0:1]
	v_rcp_f64_e32 v[6:7], v[4:5]
	v_fma_f64 v[8:9], -v[4:5], v[6:7], 1.0
	v_fma_f64 v[6:7], v[6:7], v[8:9], v[6:7]
	v_fma_f64 v[8:9], -v[4:5], v[6:7], 1.0
	v_fma_f64 v[6:7], v[6:7], v[8:9], v[6:7]
	v_mul_f64 v[8:9], v[10:11], v[6:7]
	v_fma_f64 v[4:5], -v[4:5], v[8:9], v[10:11]
	v_div_fmas_f64 v[4:5], v[4:5], v[6:7], v[8:9]
	v_div_fixup_f64 v[0:1], v[4:5], v[2:3], v[0:1]
.LBB8_659:
	s_or_b64 exec, exec, s[28:29]
	v_mul_lo_u32 v2, v14, s2
	v_mov_b32_e32 v3, s9
	s_and_b32 s36, s33, 0xff
	s_cmp_lt_i32 s36, 11
	v_ashrrev_i32_e32 v5, 31, v2
	v_add_co_u32_e32 v4, vcc, s8, v2
	v_addc_co_u32_e32 v5, vcc, v3, v5, vcc
	s_cbranch_scc1 .LBB8_667
; %bb.660:
	s_and_b32 s37, 0xffff, s36
	s_cmp_gt_i32 s37, 25
	s_cbranch_scc0 .LBB8_668
; %bb.661:
	s_cmp_gt_i32 s37, 28
	s_cbranch_scc0 .LBB8_669
; %bb.662:
	;; [unrolled: 3-line block ×4, first 2 shown]
	s_mov_b64 s[30:31], 0
	s_mov_b64 s[0:1], -1
	s_cmp_eq_u32 s37, 46
	s_mov_b64 s[28:29], 0
	s_cbranch_scc0 .LBB8_672
; %bb.665:
	v_cvt_f32_f64_e32 v2, v[0:1]
	s_movk_i32 s0, 0x7fff
	v_mov_b32_e32 v3, 0x7fc0
	s_mov_b64 s[28:29], -1
	v_bfe_u32 v6, v2, 16, 1
	v_cmp_o_f32_e32 vcc, v2, v2
	v_add3_u32 v2, v2, v6, s0
	v_cndmask_b32_sdwa v2, v3, v2, vcc dst_sel:DWORD dst_unused:UNUSED_PAD src0_sel:DWORD src1_sel:WORD_1
	global_store_dword v[4:5], v2, off
	s_mov_b64 s[0:1], 0
	s_branch .LBB8_672
.LBB8_666:
	s_mov_b64 s[30:31], 0
                                        ; implicit-def: $vgpr14
	s_mov_b64 s[0:1], s[20:21]
	s_branch .LBB8_783
.LBB8_667:
	s_mov_b64 s[30:31], -1
	s_mov_b64 s[28:29], 0
	s_mov_b64 s[0:1], s[20:21]
	s_branch .LBB8_741
.LBB8_668:
	s_mov_b64 s[30:31], -1
	s_mov_b64 s[28:29], 0
	s_mov_b64 s[0:1], s[20:21]
	s_branch .LBB8_699
.LBB8_669:
	s_mov_b64 s[30:31], -1
	s_mov_b64 s[28:29], 0
	s_mov_b64 s[0:1], s[20:21]
	s_branch .LBB8_682
.LBB8_670:
	s_mov_b64 s[30:31], -1
	s_mov_b64 s[28:29], 0
	s_mov_b64 s[0:1], s[20:21]
	s_branch .LBB8_678
.LBB8_671:
	s_mov_b64 s[30:31], -1
	s_mov_b64 s[28:29], 0
	s_mov_b64 s[0:1], s[20:21]
.LBB8_672:
	s_and_b64 vcc, exec, s[30:31]
	s_cbranch_vccz .LBB8_677
; %bb.673:
	s_cmp_eq_u32 s37, 44
	s_mov_b64 s[0:1], -1
	s_cbranch_scc0 .LBB8_677
; %bb.674:
	v_cvt_f32_f64_e32 v2, v[0:1]
	s_movk_i32 s0, 0xff
	v_mov_b32_e32 v6, 0xff
	v_bfe_u32 v3, v2, 23, 8
	v_cmp_ne_u32_e32 vcc, s0, v3
	s_and_saveexec_b64 s[28:29], vcc
; %bb.675:
	s_mov_b32 s0, 0x3fffff
	v_lshrrev_b32_e32 v6, 23, v2
	v_and_b32_e32 v7, 0x400000, v2
	v_and_or_b32 v2, v2, s0, v3
	v_cmp_ne_u32_e32 vcc, 0, v7
	v_cmp_ne_u32_e64 s[0:1], 0, v2
	s_and_b64 s[0:1], vcc, s[0:1]
	v_cndmask_b32_e64 v2, 0, 1, s[0:1]
	v_add_u32_e32 v6, v6, v2
; %bb.676:
	s_or_b64 exec, exec, s[28:29]
	s_mov_b64 s[28:29], -1
	s_mov_b64 s[0:1], 0
	global_store_byte v[4:5], v6, off
.LBB8_677:
	s_mov_b64 s[30:31], 0
.LBB8_678:
	s_and_b64 vcc, exec, s[30:31]
	s_cbranch_vccz .LBB8_681
; %bb.679:
	s_cmp_eq_u32 s37, 29
	s_mov_b64 s[0:1], -1
	s_cbranch_scc0 .LBB8_681
; %bb.680:
	v_trunc_f64_e32 v[2:3], v[0:1]
	s_movk_i32 s0, 0xffe0
	s_mov_b64 s[28:29], -1
	s_mov_b64 s[30:31], 0
	v_ldexp_f64 v[6:7], v[2:3], s0
	s_mov_b32 s0, 0
	s_mov_b32 s1, 0xc1f00000
	v_floor_f64_e32 v[6:7], v[6:7]
	v_fma_f64 v[2:3], v[6:7], s[0:1], v[2:3]
	v_cvt_u32_f64_e32 v7, v[6:7]
	s_mov_b64 s[0:1], 0
	v_cvt_u32_f64_e32 v6, v[2:3]
	global_store_dwordx2 v[4:5], v[6:7], off
	s_branch .LBB8_682
.LBB8_681:
	s_mov_b64 s[30:31], 0
.LBB8_682:
	s_and_b64 vcc, exec, s[30:31]
	s_cbranch_vccz .LBB8_698
; %bb.683:
	s_cmp_lt_i32 s37, 27
	s_mov_b64 s[28:29], -1
	s_cbranch_scc1 .LBB8_689
; %bb.684:
	v_cvt_u32_f64_e32 v2, v[0:1]
	s_cmp_gt_i32 s37, 27
	s_cbranch_scc0 .LBB8_686
; %bb.685:
	s_mov_b64 s[28:29], 0
	global_store_dword v[4:5], v2, off
.LBB8_686:
	s_andn2_b64 vcc, exec, s[28:29]
	s_cbranch_vccnz .LBB8_688
; %bb.687:
	global_store_short v[4:5], v2, off
.LBB8_688:
	s_mov_b64 s[28:29], 0
.LBB8_689:
	s_andn2_b64 vcc, exec, s[28:29]
	s_cbranch_vccnz .LBB8_697
; %bb.690:
	v_cvt_f32_f64_e32 v2, v[0:1]
	s_mov_b32 s28, 0x43800000
	v_mov_b32_e32 v6, 0x80
	v_and_b32_e32 v3, 0x7fffffff, v2
	v_cmp_gt_u32_e32 vcc, s28, v3
	s_and_saveexec_b64 s[28:29], vcc
	s_cbranch_execz .LBB8_696
; %bb.691:
	s_mov_b32 s30, 0x3bffffff
	v_cmp_lt_u32_e32 vcc, s30, v3
	s_mov_b64 s[30:31], 0
                                        ; implicit-def: $vgpr3
	s_and_saveexec_b64 s[34:35], vcc
	s_xor_b64 s[34:35], exec, s[34:35]
	s_cbranch_execz .LBB8_797
; %bb.692:
	v_bfe_u32 v3, v2, 20, 1
	s_mov_b32 s39, 0x487ffff
	v_add3_u32 v3, v2, v3, s39
	s_mov_b64 s[30:31], exec
	v_lshrrev_b32_e32 v3, 20, v3
	s_andn2_saveexec_b64 s[34:35], s[34:35]
	s_cbranch_execnz .LBB8_798
.LBB8_693:
	s_or_b64 exec, exec, s[34:35]
	v_mov_b32_e32 v6, 0
	s_and_saveexec_b64 s[34:35], s[30:31]
.LBB8_694:
	v_lshrrev_b32_e32 v2, 24, v2
	s_movk_i32 s30, 0x80
	v_and_or_b32 v6, v2, s30, v3
.LBB8_695:
	s_or_b64 exec, exec, s[34:35]
.LBB8_696:
	s_or_b64 exec, exec, s[28:29]
	global_store_byte v[4:5], v6, off
.LBB8_697:
	s_mov_b64 s[28:29], -1
.LBB8_698:
	s_mov_b64 s[30:31], 0
.LBB8_699:
	s_and_b64 vcc, exec, s[30:31]
	s_cbranch_vccz .LBB8_740
; %bb.700:
	s_cmp_gt_i32 s37, 22
	s_mov_b64 s[30:31], -1
	s_cbranch_scc0 .LBB8_732
; %bb.701:
	s_cmp_lt_i32 s37, 24
	s_mov_b64 s[28:29], -1
	s_cbranch_scc1 .LBB8_721
; %bb.702:
	s_cmp_gt_i32 s37, 24
	s_cbranch_scc0 .LBB8_710
; %bb.703:
	v_cvt_f32_f64_e32 v2, v[0:1]
	s_mov_b32 s28, 0x47800000
	v_mov_b32_e32 v6, 0x80
	v_and_b32_e32 v3, 0x7fffffff, v2
	v_cmp_gt_u32_e32 vcc, s28, v3
	s_and_saveexec_b64 s[28:29], vcc
	s_cbranch_execz .LBB8_709
; %bb.704:
	s_mov_b32 s30, 0x37ffffff
	v_cmp_lt_u32_e32 vcc, s30, v3
	s_mov_b64 s[30:31], 0
                                        ; implicit-def: $vgpr3
	s_and_saveexec_b64 s[34:35], vcc
	s_xor_b64 s[34:35], exec, s[34:35]
	s_cbranch_execz .LBB8_800
; %bb.705:
	v_bfe_u32 v3, v2, 21, 1
	s_mov_b32 s39, 0x88fffff
	v_add3_u32 v3, v2, v3, s39
	s_mov_b64 s[30:31], exec
	v_lshrrev_b32_e32 v3, 21, v3
	s_andn2_saveexec_b64 s[34:35], s[34:35]
	s_cbranch_execnz .LBB8_801
.LBB8_706:
	s_or_b64 exec, exec, s[34:35]
	v_mov_b32_e32 v6, 0
	s_and_saveexec_b64 s[34:35], s[30:31]
.LBB8_707:
	v_lshrrev_b32_e32 v2, 24, v2
	s_movk_i32 s30, 0x80
	v_and_or_b32 v6, v2, s30, v3
.LBB8_708:
	s_or_b64 exec, exec, s[34:35]
.LBB8_709:
	s_or_b64 exec, exec, s[28:29]
	s_mov_b64 s[28:29], 0
	global_store_byte v[4:5], v6, off
.LBB8_710:
	s_and_b64 vcc, exec, s[28:29]
	s_cbranch_vccz .LBB8_720
; %bb.711:
	v_cvt_f32_f64_e32 v2, v[0:1]
	s_mov_b32 s28, 0x43f00000
                                        ; implicit-def: $vgpr3
	v_and_b32_e32 v6, 0x7fffffff, v2
	v_cmp_gt_u32_e32 vcc, s28, v6
	s_and_saveexec_b64 s[28:29], vcc
	s_xor_b64 s[28:29], exec, s[28:29]
	s_cbranch_execz .LBB8_717
; %bb.712:
	s_mov_b32 s30, 0x3c7fffff
	v_cmp_lt_u32_e32 vcc, s30, v6
                                        ; implicit-def: $vgpr3
	s_and_saveexec_b64 s[30:31], vcc
	s_xor_b64 s[30:31], exec, s[30:31]
; %bb.713:
	v_bfe_u32 v3, v2, 20, 1
	s_mov_b32 s34, 0x407ffff
	v_add3_u32 v3, v2, v3, s34
	v_lshrrev_b32_e32 v6, 20, v3
	v_and_b32_e32 v3, 0xff00000, v3
	s_mov_b32 s34, 0x7f00000
	v_mov_b32_e32 v7, 0x7e
	v_cmp_ne_u32_e32 vcc, s34, v3
	v_cndmask_b32_e32 v3, v7, v6, vcc
; %bb.714:
	s_andn2_saveexec_b64 s[30:31], s[30:31]
; %bb.715:
	s_mov_b32 s34, 0x46800000
	v_add_f32_e64 v3, |v2|, s34
; %bb.716:
	s_or_b64 exec, exec, s[30:31]
                                        ; implicit-def: $vgpr6
.LBB8_717:
	s_andn2_saveexec_b64 s[28:29], s[28:29]
; %bb.718:
	s_mov_b32 s30, 0x7f800000
	v_mov_b32_e32 v3, 0x7e
	v_mov_b32_e32 v7, 0x7f
	v_cmp_lt_u32_e32 vcc, s30, v6
	v_cndmask_b32_e32 v3, v3, v7, vcc
; %bb.719:
	s_or_b64 exec, exec, s[28:29]
	v_lshrrev_b32_e32 v2, 24, v2
	s_movk_i32 s28, 0x80
	v_and_or_b32 v2, v2, s28, v3
	global_store_byte v[4:5], v2, off
.LBB8_720:
	s_mov_b64 s[28:29], 0
.LBB8_721:
	s_andn2_b64 vcc, exec, s[28:29]
	s_cbranch_vccnz .LBB8_731
; %bb.722:
	v_cvt_f32_f64_e32 v2, v[0:1]
	s_mov_b32 s28, 0x47800000
                                        ; implicit-def: $vgpr3
	v_and_b32_e32 v6, 0x7fffffff, v2
	v_cmp_gt_u32_e32 vcc, s28, v6
	s_and_saveexec_b64 s[28:29], vcc
	s_xor_b64 s[28:29], exec, s[28:29]
	s_cbranch_execz .LBB8_728
; %bb.723:
	s_mov_b32 s30, 0x387fffff
	v_cmp_lt_u32_e32 vcc, s30, v6
                                        ; implicit-def: $vgpr3
	s_and_saveexec_b64 s[30:31], vcc
	s_xor_b64 s[30:31], exec, s[30:31]
; %bb.724:
	v_bfe_u32 v3, v2, 21, 1
	s_mov_b32 s34, 0x80fffff
	v_add3_u32 v3, v2, v3, s34
	v_lshrrev_b32_e32 v3, 21, v3
; %bb.725:
	s_andn2_saveexec_b64 s[30:31], s[30:31]
; %bb.726:
	s_mov_b32 s34, 0x43000000
	v_add_f32_e64 v3, |v2|, s34
; %bb.727:
	s_or_b64 exec, exec, s[30:31]
                                        ; implicit-def: $vgpr6
.LBB8_728:
	s_andn2_saveexec_b64 s[28:29], s[28:29]
; %bb.729:
	s_mov_b32 s30, 0x7f800000
	v_mov_b32_e32 v3, 0x7c
	v_mov_b32_e32 v7, 0x7f
	v_cmp_lt_u32_e32 vcc, s30, v6
	v_cndmask_b32_e32 v3, v3, v7, vcc
; %bb.730:
	s_or_b64 exec, exec, s[28:29]
	v_lshrrev_b32_e32 v2, 24, v2
	s_movk_i32 s28, 0x80
	v_and_or_b32 v2, v2, s28, v3
	global_store_byte v[4:5], v2, off
.LBB8_731:
	s_mov_b64 s[30:31], 0
	s_mov_b64 s[28:29], -1
.LBB8_732:
	s_andn2_b64 vcc, exec, s[30:31]
	s_cbranch_vccnz .LBB8_740
; %bb.733:
	s_cmp_gt_i32 s37, 14
	s_mov_b64 s[30:31], -1
	s_cbranch_scc0 .LBB8_737
; %bb.734:
	s_cmp_eq_u32 s37, 15
	s_mov_b64 s[0:1], -1
	s_cbranch_scc0 .LBB8_736
; %bb.735:
	v_cvt_f32_f64_e32 v2, v[0:1]
	s_movk_i32 s0, 0x7fff
	v_mov_b32_e32 v3, 0x7fc0
	s_mov_b64 s[28:29], -1
	v_bfe_u32 v6, v2, 16, 1
	v_cmp_o_f32_e32 vcc, v2, v2
	v_add3_u32 v2, v2, v6, s0
	v_cndmask_b32_sdwa v2, v3, v2, vcc dst_sel:DWORD dst_unused:UNUSED_PAD src0_sel:DWORD src1_sel:WORD_1
	global_store_short v[4:5], v2, off
	s_mov_b64 s[0:1], 0
.LBB8_736:
	s_mov_b64 s[30:31], 0
.LBB8_737:
	s_and_b64 vcc, exec, s[30:31]
	s_cbranch_vccz .LBB8_740
; %bb.738:
	s_cmp_eq_u32 s37, 11
	s_mov_b64 s[0:1], -1
	s_cbranch_scc0 .LBB8_740
; %bb.739:
	v_cmp_neq_f64_e32 vcc, 0, v[0:1]
	s_mov_b64 s[0:1], 0
	s_mov_b64 s[28:29], -1
	v_cndmask_b32_e64 v2, 0, 1, vcc
	global_store_byte v[4:5], v2, off
.LBB8_740:
	s_mov_b64 s[30:31], 0
.LBB8_741:
	s_and_b64 vcc, exec, s[30:31]
	s_cbranch_vccz .LBB8_780
; %bb.742:
	s_and_b32 s30, 0xffff, s36
	s_cmp_lt_i32 s30, 5
	s_mov_b64 s[28:29], -1
	s_cbranch_scc1 .LBB8_763
; %bb.743:
	s_cmp_lt_i32 s30, 8
	s_cbranch_scc1 .LBB8_753
; %bb.744:
	s_cmp_lt_i32 s30, 9
	s_cbranch_scc1 .LBB8_750
; %bb.745:
	s_cmp_gt_i32 s30, 9
	s_cbranch_scc0 .LBB8_747
; %bb.746:
	v_mov_b32_e32 v2, 0
	v_mov_b32_e32 v3, v2
	s_mov_b64 s[28:29], 0
	global_store_dwordx4 v[4:5], v[0:3], off
.LBB8_747:
	s_andn2_b64 vcc, exec, s[28:29]
	s_cbranch_vccnz .LBB8_749
; %bb.748:
	v_cvt_f32_f64_e32 v2, v[0:1]
	v_mov_b32_e32 v3, 0
	global_store_dwordx2 v[4:5], v[2:3], off
.LBB8_749:
	s_mov_b64 s[28:29], 0
.LBB8_750:
	s_andn2_b64 vcc, exec, s[28:29]
	s_cbranch_vccnz .LBB8_752
; %bb.751:
	s_movk_i32 s28, 0x1ff
	v_and_or_b32 v2, v1, s28, v0
	v_cmp_ne_u32_e32 vcc, 0, v2
	v_cndmask_b32_e64 v2, 0, 1, vcc
	v_lshrrev_b32_e32 v3, 8, v1
	s_movk_i32 s28, 0xffe
	v_bfe_u32 v6, v1, 20, 11
	v_and_or_b32 v2, v3, s28, v2
	v_sub_u32_e32 v7, 0x3f1, v6
	v_or_b32_e32 v3, 0x1000, v2
	v_med3_i32 v7, v7, 0, 13
	v_lshrrev_b32_e32 v8, v7, v3
	v_lshlrev_b32_e32 v7, v7, v8
	v_cmp_ne_u32_e32 vcc, v7, v3
	v_cndmask_b32_e64 v3, 0, 1, vcc
	v_add_u32_e32 v6, 0xfffffc10, v6
	v_or_b32_e32 v3, v8, v3
	v_lshl_or_b32 v7, v6, 12, v2
	v_cmp_gt_i32_e32 vcc, 1, v6
	v_cndmask_b32_e32 v3, v7, v3, vcc
	v_and_b32_e32 v7, 7, v3
	v_cmp_lt_i32_e32 vcc, 5, v7
	v_cndmask_b32_e64 v8, 0, 1, vcc
	v_cmp_eq_u32_e32 vcc, 3, v7
	v_cndmask_b32_e64 v7, 0, 1, vcc
	v_or_b32_e32 v7, v7, v8
	v_lshrrev_b32_e32 v3, 2, v3
	v_add_u32_e32 v3, v3, v7
	v_mov_b32_e32 v7, 0x7c00
	v_cmp_gt_i32_e32 vcc, 31, v6
	v_cndmask_b32_e32 v3, v7, v3, vcc
	v_mov_b32_e32 v8, 0x7e00
	v_cmp_ne_u32_e32 vcc, 0, v2
	s_movk_i32 s28, 0x40f
	v_cndmask_b32_e32 v2, v7, v8, vcc
	v_cmp_eq_u32_e32 vcc, s28, v6
	v_cndmask_b32_e32 v2, v3, v2, vcc
	v_lshrrev_b32_e32 v3, 16, v1
	s_mov_b32 s28, 0x8000
	v_and_or_b32 v2, v3, s28, v2
	v_and_b32_e32 v2, 0xffff, v2
	global_store_dword v[4:5], v2, off
.LBB8_752:
	s_mov_b64 s[28:29], 0
.LBB8_753:
	s_andn2_b64 vcc, exec, s[28:29]
	s_cbranch_vccnz .LBB8_762
; %bb.754:
	s_cmp_lt_i32 s30, 6
	s_mov_b64 s[28:29], -1
	s_cbranch_scc1 .LBB8_760
; %bb.755:
	s_cmp_gt_i32 s30, 6
	s_cbranch_scc0 .LBB8_757
; %bb.756:
	s_mov_b64 s[28:29], 0
	global_store_dwordx2 v[4:5], v[0:1], off
.LBB8_757:
	s_andn2_b64 vcc, exec, s[28:29]
	s_cbranch_vccnz .LBB8_759
; %bb.758:
	v_cvt_f32_f64_e32 v2, v[0:1]
	global_store_dword v[4:5], v2, off
.LBB8_759:
	s_mov_b64 s[28:29], 0
.LBB8_760:
	s_andn2_b64 vcc, exec, s[28:29]
	s_cbranch_vccnz .LBB8_762
; %bb.761:
	s_movk_i32 s28, 0x1ff
	v_and_or_b32 v2, v1, s28, v0
	v_cmp_ne_u32_e32 vcc, 0, v2
	v_cndmask_b32_e64 v2, 0, 1, vcc
	v_lshrrev_b32_e32 v3, 8, v1
	s_movk_i32 s28, 0xffe
	v_bfe_u32 v6, v1, 20, 11
	v_and_or_b32 v2, v3, s28, v2
	v_sub_u32_e32 v7, 0x3f1, v6
	v_or_b32_e32 v3, 0x1000, v2
	v_med3_i32 v7, v7, 0, 13
	v_lshrrev_b32_e32 v8, v7, v3
	v_lshlrev_b32_e32 v7, v7, v8
	v_cmp_ne_u32_e32 vcc, v7, v3
	v_cndmask_b32_e64 v3, 0, 1, vcc
	v_add_u32_e32 v6, 0xfffffc10, v6
	v_or_b32_e32 v3, v8, v3
	v_lshl_or_b32 v7, v6, 12, v2
	v_cmp_gt_i32_e32 vcc, 1, v6
	v_cndmask_b32_e32 v3, v7, v3, vcc
	v_and_b32_e32 v7, 7, v3
	v_cmp_lt_i32_e32 vcc, 5, v7
	v_cndmask_b32_e64 v8, 0, 1, vcc
	v_cmp_eq_u32_e32 vcc, 3, v7
	v_cndmask_b32_e64 v7, 0, 1, vcc
	v_or_b32_e32 v7, v7, v8
	v_lshrrev_b32_e32 v3, 2, v3
	v_add_u32_e32 v3, v3, v7
	v_mov_b32_e32 v7, 0x7c00
	v_cmp_gt_i32_e32 vcc, 31, v6
	v_cndmask_b32_e32 v3, v7, v3, vcc
	v_mov_b32_e32 v8, 0x7e00
	v_cmp_ne_u32_e32 vcc, 0, v2
	s_movk_i32 s28, 0x40f
	v_cndmask_b32_e32 v2, v7, v8, vcc
	v_cmp_eq_u32_e32 vcc, s28, v6
	v_cndmask_b32_e32 v2, v3, v2, vcc
	v_lshrrev_b32_e32 v3, 16, v1
	s_mov_b32 s28, 0x8000
	v_and_or_b32 v2, v3, s28, v2
	global_store_short v[4:5], v2, off
.LBB8_762:
	s_mov_b64 s[28:29], 0
.LBB8_763:
	s_andn2_b64 vcc, exec, s[28:29]
	s_cbranch_vccnz .LBB8_779
; %bb.764:
	s_cmp_lt_i32 s30, 2
	s_mov_b64 s[28:29], -1
	s_cbranch_scc1 .LBB8_774
; %bb.765:
	s_cmp_lt_i32 s30, 3
	s_cbranch_scc1 .LBB8_771
; %bb.766:
	s_cmp_gt_i32 s30, 3
	s_cbranch_scc0 .LBB8_768
; %bb.767:
	v_trunc_f64_e32 v[2:3], v[0:1]
	s_movk_i32 s28, 0xffe0
	v_ldexp_f64 v[6:7], v[2:3], s28
	s_mov_b32 s28, 0
	s_mov_b32 s29, 0xc1f00000
	v_floor_f64_e32 v[6:7], v[6:7]
	v_fma_f64 v[2:3], v[6:7], s[28:29], v[2:3]
	v_cvt_i32_f64_e32 v7, v[6:7]
	s_mov_b64 s[28:29], 0
	v_cvt_u32_f64_e32 v6, v[2:3]
	global_store_dwordx2 v[4:5], v[6:7], off
.LBB8_768:
	s_andn2_b64 vcc, exec, s[28:29]
	s_cbranch_vccnz .LBB8_770
; %bb.769:
	v_cvt_i32_f64_e32 v2, v[0:1]
	global_store_dword v[4:5], v2, off
.LBB8_770:
	s_mov_b64 s[28:29], 0
.LBB8_771:
	s_andn2_b64 vcc, exec, s[28:29]
	s_cbranch_vccnz .LBB8_773
; %bb.772:
	v_cvt_i32_f64_e32 v2, v[0:1]
	global_store_short v[4:5], v2, off
.LBB8_773:
	s_mov_b64 s[28:29], 0
.LBB8_774:
	s_andn2_b64 vcc, exec, s[28:29]
	s_cbranch_vccnz .LBB8_779
; %bb.775:
	s_cmp_gt_i32 s30, 0
	s_mov_b64 s[28:29], -1
	s_cbranch_scc0 .LBB8_777
; %bb.776:
	v_cvt_i32_f64_e32 v2, v[0:1]
	s_mov_b64 s[28:29], 0
	global_store_byte v[4:5], v2, off
.LBB8_777:
	s_andn2_b64 vcc, exec, s[28:29]
	s_cbranch_vccnz .LBB8_779
; %bb.778:
	v_trunc_f64_e32 v[0:1], v[0:1]
	s_movk_i32 s28, 0xffe0
	v_ldexp_f64 v[2:3], v[0:1], s28
	s_mov_b32 s28, 0
	s_mov_b32 s29, 0xc1f00000
	v_floor_f64_e32 v[2:3], v[2:3]
	v_fma_f64 v[0:1], v[2:3], s[28:29], v[0:1]
	v_cvt_u32_f64_e32 v0, v[0:1]
	global_store_byte v[4:5], v0, off
.LBB8_779:
	s_mov_b64 s[28:29], -1
.LBB8_780:
	s_andn2_b64 vcc, exec, s[28:29]
	s_cbranch_vccnz .LBB8_782
; %bb.781:
	v_add_u32_e32 v14, 0x80, v14
	s_mov_b64 s[30:31], -1
	s_branch .LBB8_783
.LBB8_782:
	s_mov_b64 s[30:31], 0
                                        ; implicit-def: $vgpr14
.LBB8_783:
	s_andn2_b64 s[28:29], s[20:21], exec
	s_and_b64 s[0:1], s[0:1], exec
	s_or_b64 s[28:29], s[28:29], s[0:1]
	s_andn2_b64 s[0:1], s[18:19], exec
	s_and_b64 s[26:27], s[26:27], exec
	s_or_b64 s[0:1], s[0:1], s[26:27]
	s_orn2_b64 s[34:35], s[30:31], exec
.LBB8_784:
	s_or_b64 exec, exec, s[24:25]
	s_mov_b64 s[30:31], 0
	s_mov_b64 s[26:27], 0
	;; [unrolled: 1-line block ×3, first 2 shown]
                                        ; implicit-def: $vgpr0_vgpr1
                                        ; implicit-def: $vgpr2_vgpr3
	s_and_saveexec_b64 s[24:25], s[34:35]
	s_cbranch_execz .LBB8_869
; %bb.785:
	v_cmp_gt_i32_e32 vcc, s38, v14
	s_mov_b64 s[34:35], 0
	s_mov_b64 s[38:39], s[0:1]
	;; [unrolled: 1-line block ×3, first 2 shown]
                                        ; implicit-def: $vgpr0_vgpr1
                                        ; implicit-def: $vgpr2_vgpr3
	s_and_saveexec_b64 s[26:27], vcc
	s_cbranch_execz .LBB8_868
; %bb.786:
	v_mul_lo_u32 v0, v14, s3
	v_mov_b32_e32 v1, s11
	s_and_b32 s43, 0xffff, s42
	s_cmp_lt_i32 s43, 11
	s_waitcnt vmcnt(0)
	v_ashrrev_i32_e32 v2, 31, v0
	v_add_co_u32_e32 v0, vcc, s10, v0
	v_addc_co_u32_e32 v1, vcc, v1, v2, vcc
	s_cbranch_scc1 .LBB8_793
; %bb.787:
	s_cmp_gt_i32 s43, 25
	s_cbranch_scc0 .LBB8_794
; %bb.788:
	s_cmp_gt_i32 s43, 28
	s_cbranch_scc0 .LBB8_795
	;; [unrolled: 3-line block ×4, first 2 shown]
; %bb.791:
	s_cmp_eq_u32 s43, 46
	s_mov_b64 s[38:39], 0
	s_cbranch_scc0 .LBB8_802
; %bb.792:
	global_load_dword v2, v[0:1], off
	s_mov_b64 s[36:37], -1
	s_waitcnt vmcnt(0)
	v_lshlrev_b32_e32 v2, 16, v2
	v_cvt_f64_f32_e32 v[2:3], v2
	s_branch .LBB8_804
.LBB8_793:
	s_mov_b64 s[38:39], -1
                                        ; implicit-def: $vgpr2_vgpr3
	s_mov_b64 s[30:31], s[0:1]
	s_branch .LBB8_867
.LBB8_794:
	s_mov_b64 s[38:39], -1
	s_mov_b64 s[30:31], s[0:1]
                                        ; implicit-def: $vgpr2_vgpr3
	s_branch .LBB8_835
.LBB8_795:
	s_mov_b64 s[38:39], -1
	s_mov_b64 s[30:31], s[0:1]
                                        ; implicit-def: $vgpr2_vgpr3
	s_branch .LBB8_814
.LBB8_796:
	s_mov_b64 s[38:39], -1
	s_mov_b64 s[30:31], s[0:1]
                                        ; implicit-def: $vgpr2_vgpr3
	s_branch .LBB8_809
.LBB8_797:
	s_andn2_saveexec_b64 s[34:35], s[34:35]
	s_cbranch_execz .LBB8_693
.LBB8_798:
	s_mov_b32 s39, 0x46000000
	v_add_f32_e64 v3, |v2|, s39
	v_and_b32_e32 v3, 0xff, v3
	v_cmp_ne_u32_e32 vcc, 0, v3
	s_andn2_b64 s[30:31], s[30:31], exec
	s_and_b64 s[40:41], vcc, exec
	s_or_b64 s[30:31], s[30:31], s[40:41]
	s_or_b64 exec, exec, s[34:35]
	v_mov_b32_e32 v6, 0
	s_and_saveexec_b64 s[34:35], s[30:31]
	s_cbranch_execnz .LBB8_694
	s_branch .LBB8_695
.LBB8_799:
	s_mov_b64 s[38:39], -1
	s_mov_b64 s[30:31], s[0:1]
	s_branch .LBB8_803
.LBB8_800:
	s_andn2_saveexec_b64 s[34:35], s[34:35]
	s_cbranch_execz .LBB8_706
.LBB8_801:
	s_mov_b32 s39, 0x42800000
	v_add_f32_e64 v3, |v2|, s39
	v_and_b32_e32 v3, 0xff, v3
	v_cmp_ne_u32_e32 vcc, 0, v3
	s_andn2_b64 s[30:31], s[30:31], exec
	s_and_b64 s[40:41], vcc, exec
	s_or_b64 s[30:31], s[30:31], s[40:41]
	s_or_b64 exec, exec, s[34:35]
	v_mov_b32_e32 v6, 0
	s_and_saveexec_b64 s[34:35], s[30:31]
	s_cbranch_execnz .LBB8_707
	s_branch .LBB8_708
.LBB8_802:
	s_mov_b64 s[30:31], -1
.LBB8_803:
                                        ; implicit-def: $vgpr2_vgpr3
.LBB8_804:
	s_and_b64 vcc, exec, s[38:39]
	s_cbranch_vccz .LBB8_808
; %bb.805:
	s_cmp_eq_u32 s43, 44
	s_cbranch_scc0 .LBB8_807
; %bb.806:
	global_load_ubyte v4, v[0:1], off
	s_movk_i32 s36, 0xff
	v_bfrev_b32_e32 v5, 4
	v_mov_b32_e32 v6, 0x7ff80000
	v_bfrev_b32_e32 v7, 28
	s_mov_b64 s[30:31], 0
	s_waitcnt vmcnt(0)
	v_lshlrev_b32_e32 v2, 23, v4
	v_cvt_f64_f32_e32 v[2:3], v2
	v_cmp_ne_u32_e32 vcc, s36, v4
	s_mov_b64 s[36:37], -1
	v_cndmask_b32_e32 v2, v5, v2, vcc
	v_cndmask_b32_e32 v3, v6, v3, vcc
	v_cmp_ne_u32_e32 vcc, 0, v4
	v_cndmask_b32_e32 v3, v7, v3, vcc
	v_cndmask_b32_e32 v2, 0, v2, vcc
	s_branch .LBB8_808
.LBB8_807:
	s_mov_b64 s[30:31], -1
                                        ; implicit-def: $vgpr2_vgpr3
.LBB8_808:
	s_mov_b64 s[38:39], 0
.LBB8_809:
	s_and_b64 vcc, exec, s[38:39]
	s_cbranch_vccz .LBB8_813
; %bb.810:
	s_cmp_eq_u32 s43, 29
	s_cbranch_scc0 .LBB8_812
; %bb.811:
	global_load_dwordx2 v[2:3], v[0:1], off
	s_mov_b64 s[30:31], 0
	s_mov_b64 s[36:37], -1
	s_mov_b64 s[38:39], 0
	s_waitcnt vmcnt(0)
	v_cvt_f64_u32_e32 v[3:4], v3
	v_cvt_f64_u32_e32 v[5:6], v2
	v_ldexp_f64 v[3:4], v[3:4], 32
	v_add_f64 v[2:3], v[3:4], v[5:6]
	s_branch .LBB8_814
.LBB8_812:
	s_mov_b64 s[30:31], -1
                                        ; implicit-def: $vgpr2_vgpr3
.LBB8_813:
	s_mov_b64 s[38:39], 0
.LBB8_814:
	s_and_b64 vcc, exec, s[38:39]
	s_cbranch_vccz .LBB8_834
; %bb.815:
	s_cmp_lt_i32 s43, 27
	s_cbranch_scc1 .LBB8_818
; %bb.816:
	s_cmp_gt_i32 s43, 27
	s_cbranch_scc0 .LBB8_819
; %bb.817:
	global_load_dword v2, v[0:1], off
	s_mov_b64 s[36:37], 0
	s_waitcnt vmcnt(0)
	v_cvt_f64_u32_e32 v[2:3], v2
	s_branch .LBB8_820
.LBB8_818:
	s_mov_b64 s[36:37], -1
                                        ; implicit-def: $vgpr2_vgpr3
	s_branch .LBB8_823
.LBB8_819:
	s_mov_b64 s[36:37], -1
                                        ; implicit-def: $vgpr2_vgpr3
.LBB8_820:
	s_andn2_b64 vcc, exec, s[36:37]
	s_cbranch_vccnz .LBB8_822
; %bb.821:
	global_load_ushort v2, v[0:1], off
	s_waitcnt vmcnt(0)
	v_cvt_f64_u32_e32 v[2:3], v2
.LBB8_822:
	s_mov_b64 s[36:37], 0
.LBB8_823:
	s_andn2_b64 vcc, exec, s[36:37]
	s_cbranch_vccnz .LBB8_833
; %bb.824:
	global_load_ubyte v4, v[0:1], off
	s_movk_i32 s36, 0x7f
	s_waitcnt vmcnt(0)
	v_cmp_lt_i16_e32 vcc, s36, v4
	s_mov_b64 s[36:37], 0
	s_and_saveexec_b64 s[38:39], vcc
	s_xor_b64 s[38:39], exec, s[38:39]
	s_cbranch_execz .LBB8_828
; %bb.825:
	s_movk_i32 s36, 0x80
	v_cmp_eq_u16_e32 vcc, s36, v4
	s_mov_b64 s[36:37], -1
	s_and_saveexec_b64 s[40:41], vcc
; %bb.826:
	s_xor_b64 s[36:37], exec, -1
; %bb.827:
	s_or_b64 exec, exec, s[40:41]
	s_and_b64 s[36:37], s[36:37], exec
.LBB8_828:
	s_or_saveexec_b64 s[38:39], s[38:39]
	v_bfrev_b32_e32 v2, 4
	v_mov_b32_e32 v3, 0x7ff80000
	s_xor_b64 exec, exec, s[38:39]
; %bb.829:
	v_cmp_ne_u16_e32 vcc, 0, v4
	v_mov_b32_e32 v2, 0
	s_andn2_b64 s[36:37], s[36:37], exec
	s_and_b64 s[40:41], vcc, exec
	v_mov_b32_e32 v3, 0
	s_or_b64 s[36:37], s[36:37], s[40:41]
; %bb.830:
	s_or_b64 exec, exec, s[38:39]
	s_and_saveexec_b64 s[38:39], s[36:37]
	s_cbranch_execz .LBB8_832
; %bb.831:
	v_and_b32_e32 v3, 0xffff, v4
	v_lshlrev_b32_e32 v2, 24, v4
	v_and_b32_e32 v4, 7, v3
	v_ffbh_u32_e32 v6, v4
	v_min_u32_e32 v6, 32, v6
	v_subrev_u32_e32 v7, 28, v6
	v_bfe_u32 v5, v3, 3, 4
	v_lshlrev_b32_e32 v3, v7, v3
	v_sub_u32_e32 v6, 29, v6
	v_and_b32_e32 v3, 7, v3
	v_cmp_eq_u32_e32 vcc, 0, v5
	v_cndmask_b32_e32 v5, v5, v6, vcc
	v_cndmask_b32_e32 v3, v4, v3, vcc
	v_mov_b32_e32 v4, 0x3b800000
	v_lshlrev_b32_e32 v3, 20, v3
	v_and_b32_e32 v2, 0x80000000, v2
	v_lshl_add_u32 v4, v5, 23, v4
	v_or3_b32 v2, v2, v4, v3
	v_cvt_f64_f32_e32 v[2:3], v2
.LBB8_832:
	s_or_b64 exec, exec, s[38:39]
.LBB8_833:
	s_mov_b64 s[36:37], -1
.LBB8_834:
	s_mov_b64 s[38:39], 0
.LBB8_835:
	s_and_b64 vcc, exec, s[38:39]
	s_cbranch_vccz .LBB8_866
; %bb.836:
	s_cmp_gt_i32 s43, 22
	s_cbranch_scc0 .LBB8_848
; %bb.837:
	s_cmp_lt_i32 s43, 24
	s_cbranch_scc1 .LBB8_849
; %bb.838:
	s_cmp_gt_i32 s43, 24
	s_cbranch_scc0 .LBB8_850
; %bb.839:
	global_load_ubyte v4, v[0:1], off
	s_movk_i32 s34, 0x7f
	s_waitcnt vmcnt(0)
	v_cmp_lt_i16_e32 vcc, s34, v4
	s_mov_b64 s[34:35], 0
	s_and_saveexec_b64 s[36:37], vcc
	s_xor_b64 s[36:37], exec, s[36:37]
	s_cbranch_execz .LBB8_843
; %bb.840:
	s_movk_i32 s34, 0x80
	v_cmp_eq_u16_e32 vcc, s34, v4
	s_mov_b64 s[34:35], -1
	s_and_saveexec_b64 s[38:39], vcc
; %bb.841:
	s_xor_b64 s[34:35], exec, -1
; %bb.842:
	s_or_b64 exec, exec, s[38:39]
	s_and_b64 s[34:35], s[34:35], exec
.LBB8_843:
	s_or_saveexec_b64 s[36:37], s[36:37]
	v_bfrev_b32_e32 v2, 4
	v_mov_b32_e32 v3, 0x7ff80000
	s_xor_b64 exec, exec, s[36:37]
; %bb.844:
	v_cmp_ne_u16_e32 vcc, 0, v4
	v_mov_b32_e32 v2, 0
	s_andn2_b64 s[34:35], s[34:35], exec
	s_and_b64 s[38:39], vcc, exec
	v_mov_b32_e32 v3, 0
	s_or_b64 s[34:35], s[34:35], s[38:39]
; %bb.845:
	s_or_b64 exec, exec, s[36:37]
	s_and_saveexec_b64 s[36:37], s[34:35]
	s_cbranch_execz .LBB8_847
; %bb.846:
	v_and_b32_e32 v3, 0xffff, v4
	v_lshlrev_b32_e32 v2, 24, v4
	v_and_b32_e32 v4, 3, v3
	v_ffbh_u32_e32 v6, v4
	v_min_u32_e32 v6, 32, v6
	v_subrev_u32_e32 v7, 29, v6
	v_bfe_u32 v5, v3, 2, 5
	v_lshlrev_b32_e32 v3, v7, v3
	v_sub_u32_e32 v6, 30, v6
	v_and_b32_e32 v3, 3, v3
	v_cmp_eq_u32_e32 vcc, 0, v5
	v_cndmask_b32_e32 v5, v5, v6, vcc
	v_cndmask_b32_e32 v3, v4, v3, vcc
	v_mov_b32_e32 v4, 0x37800000
	v_lshlrev_b32_e32 v3, 21, v3
	v_and_b32_e32 v2, 0x80000000, v2
	v_lshl_add_u32 v4, v5, 23, v4
	v_or3_b32 v2, v2, v4, v3
	v_cvt_f64_f32_e32 v[2:3], v2
.LBB8_847:
	s_or_b64 exec, exec, s[36:37]
	s_mov_b64 s[34:35], 0
	s_branch .LBB8_851
.LBB8_848:
	s_mov_b64 s[34:35], -1
                                        ; implicit-def: $vgpr2_vgpr3
	s_branch .LBB8_857
.LBB8_849:
	s_mov_b64 s[34:35], -1
                                        ; implicit-def: $vgpr2_vgpr3
	s_branch .LBB8_854
.LBB8_850:
	s_mov_b64 s[34:35], -1
                                        ; implicit-def: $vgpr2_vgpr3
.LBB8_851:
	s_and_b64 vcc, exec, s[34:35]
	s_cbranch_vccz .LBB8_853
; %bb.852:
	global_load_ubyte v2, v[0:1], off
	s_mov_b32 s34, 0x7f800000
	s_waitcnt vmcnt(0)
	v_lshlrev_b32_e32 v2, 24, v2
	v_and_b32_e32 v3, 0x7f000000, v2
	v_ffbh_u32_e32 v4, v3
	v_min_u32_e32 v4, 32, v4
	v_sub_u32_e64 v4, v4, 4 clamp
	v_lshlrev_b32_e32 v6, v4, v3
	v_lshlrev_b32_e32 v4, 23, v4
	v_lshrrev_b32_e32 v6, 4, v6
	v_add_u32_e32 v5, 0x1000000, v3
	v_sub_u32_e32 v4, v6, v4
	v_ashrrev_i32_e32 v5, 8, v5
	v_add_u32_e32 v4, 0x3c000000, v4
	v_and_or_b32 v4, v5, s34, v4
	v_cmp_ne_u32_e32 vcc, 0, v3
	v_cndmask_b32_e32 v3, 0, v4, vcc
	s_brev_b32 s34, 1
	v_and_or_b32 v2, v2, s34, v3
	v_cvt_f64_f32_e32 v[2:3], v2
.LBB8_853:
	s_mov_b64 s[34:35], 0
.LBB8_854:
	s_andn2_b64 vcc, exec, s[34:35]
	s_cbranch_vccnz .LBB8_856
; %bb.855:
	global_load_ubyte v2, v[0:1], off
	s_movk_i32 s34, 0x7f00
	s_brev_b32 s35, 16
	s_waitcnt vmcnt(0)
	v_lshlrev_b16_e32 v3, 8, v2
	v_lshlrev_b32_e32 v2, 25, v2
	v_lshrrev_b32_e32 v4, 4, v2
	v_and_or_b32 v5, v3, s34, 0.5
	v_or_b32_e32 v4, 0x70000000, v4
	v_add_f32_e32 v5, -0.5, v5
	v_mul_f32_e32 v4, 0x7800000, v4
	v_cmp_gt_u32_e32 vcc, s35, v2
	v_bfe_i32 v3, v3, 0, 16
	v_cndmask_b32_e32 v2, v4, v5, vcc
	s_brev_b32 s34, 1
	v_and_or_b32 v2, v3, s34, v2
	v_cvt_f64_f32_e32 v[2:3], v2
.LBB8_856:
	s_mov_b64 s[34:35], 0
	s_mov_b64 s[36:37], -1
.LBB8_857:
	s_andn2_b64 vcc, exec, s[34:35]
	s_mov_b64 s[34:35], 0
	s_cbranch_vccnz .LBB8_866
; %bb.858:
	s_cmp_gt_i32 s43, 14
	s_cbranch_scc0 .LBB8_861
; %bb.859:
	s_cmp_eq_u32 s43, 15
	s_cbranch_scc0 .LBB8_862
; %bb.860:
	global_load_ushort v2, v[0:1], off
	s_mov_b64 s[30:31], 0
	s_mov_b64 s[36:37], -1
	s_waitcnt vmcnt(0)
	v_lshlrev_b32_e32 v2, 16, v2
	v_cvt_f64_f32_e32 v[2:3], v2
	s_branch .LBB8_863
.LBB8_861:
	s_mov_b64 s[38:39], -1
                                        ; implicit-def: $vgpr2_vgpr3
	s_branch .LBB8_864
.LBB8_862:
	s_mov_b64 s[30:31], -1
                                        ; implicit-def: $vgpr2_vgpr3
.LBB8_863:
	s_mov_b64 s[38:39], 0
.LBB8_864:
	s_and_b64 vcc, exec, s[38:39]
	s_cbranch_vccz .LBB8_866
; %bb.865:
	s_cmp_lg_u32 s43, 11
	s_cselect_b64 s[38:39], -1, 0
	s_andn2_b64 s[30:31], s[30:31], exec
	s_and_b64 s[38:39], s[38:39], exec
	s_mov_b64 s[34:35], -1
	s_or_b64 s[30:31], s[30:31], s[38:39]
.LBB8_866:
	s_mov_b64 s[38:39], 0
.LBB8_867:
	s_and_b64 s[40:41], s[38:39], exec
	s_andn2_b64 s[38:39], s[0:1], exec
	s_and_b64 s[30:31], s[30:31], exec
	s_and_b64 s[36:37], s[36:37], exec
	;; [unrolled: 1-line block ×3, first 2 shown]
	s_or_b64 s[38:39], s[38:39], s[30:31]
.LBB8_868:
	s_or_b64 exec, exec, s[26:27]
	s_and_b64 s[30:31], s[34:35], exec
	s_andn2_b64 s[0:1], s[0:1], exec
	s_and_b64 s[34:35], s[38:39], exec
	s_and_b64 s[36:37], s[36:37], exec
	;; [unrolled: 1-line block ×3, first 2 shown]
	s_or_b64 s[0:1], s[0:1], s[34:35]
.LBB8_869:
	s_or_b64 exec, exec, s[24:25]
	s_andn2_b64 s[20:21], s[20:21], exec
	s_and_b64 s[24:25], s[28:29], exec
	s_andn2_b64 s[18:19], s[18:19], exec
	s_and_b64 s[0:1], s[0:1], exec
	s_or_b64 s[20:21], s[20:21], s[24:25]
	s_and_b64 s[28:29], s[36:37], exec
	s_and_b64 s[26:27], s[26:27], exec
	;; [unrolled: 1-line block ×3, first 2 shown]
	s_or_b64 s[18:19], s[18:19], s[0:1]
.LBB8_870:
	s_or_b64 exec, exec, s[22:23]
	s_andn2_b64 s[0:1], s[6:7], exec
	s_and_b64 s[6:7], s[20:21], exec
	s_andn2_b64 s[14:15], s[14:15], exec
	s_and_b64 s[18:19], s[18:19], exec
	s_or_b64 s[6:7], s[0:1], s[6:7]
	s_and_b64 s[0:1], s[28:29], exec
	s_and_b64 s[22:23], s[26:27], exec
	s_and_b64 s[20:21], s[24:25], exec
	s_or_b64 s[14:15], s[14:15], s[18:19]
	s_or_b64 exec, exec, s[16:17]
	s_mov_b64 s[16:17], 0
	s_and_saveexec_b64 s[18:19], s[14:15]
	s_cbranch_execz .LBB8_266
.LBB8_871:
	s_mov_b64 s[16:17], exec
	s_andn2_b64 s[20:21], s[20:21], exec
	s_trap 2
	s_or_b64 exec, exec, s[18:19]
	s_and_saveexec_b64 s[14:15], s[20:21]
	s_xor_b64 s[14:15], exec, s[14:15]
	s_cbranch_execnz .LBB8_267
.LBB8_872:
	s_or_b64 exec, exec, s[14:15]
	s_and_saveexec_b64 s[14:15], s[22:23]
	s_cbranch_execz .LBB8_918
.LBB8_873:
	s_sext_i32_i16 s18, s42
	s_cmp_lt_i32 s18, 5
	s_cbranch_scc1 .LBB8_878
; %bb.874:
	s_cmp_lt_i32 s18, 8
	s_cbranch_scc1 .LBB8_879
; %bb.875:
	;; [unrolled: 3-line block ×3, first 2 shown]
	s_cmp_gt_i32 s18, 9
	s_cbranch_scc0 .LBB8_881
; %bb.877:
	global_load_dwordx2 v[2:3], v[0:1], off
	s_mov_b64 s[18:19], 0
	s_branch .LBB8_882
.LBB8_878:
                                        ; implicit-def: $vgpr2_vgpr3
	s_branch .LBB8_899
.LBB8_879:
                                        ; implicit-def: $vgpr2_vgpr3
	s_branch .LBB8_888
.LBB8_880:
	s_mov_b64 s[18:19], -1
                                        ; implicit-def: $vgpr2_vgpr3
	s_branch .LBB8_885
.LBB8_881:
	s_mov_b64 s[18:19], -1
                                        ; implicit-def: $vgpr2_vgpr3
.LBB8_882:
	s_andn2_b64 vcc, exec, s[18:19]
	s_cbranch_vccnz .LBB8_884
; %bb.883:
	global_load_dword v2, v[0:1], off
	s_waitcnt vmcnt(0)
	v_cvt_f64_f32_e32 v[2:3], v2
.LBB8_884:
	s_mov_b64 s[18:19], 0
.LBB8_885:
	s_andn2_b64 vcc, exec, s[18:19]
	s_cbranch_vccnz .LBB8_887
; %bb.886:
	global_load_dword v2, v[0:1], off
	s_waitcnt vmcnt(0)
	v_cvt_f32_f16_e32 v2, v2
	v_cvt_f64_f32_e32 v[2:3], v2
.LBB8_887:
	s_cbranch_execnz .LBB8_898
.LBB8_888:
	s_sext_i32_i16 s18, s42
	s_cmp_lt_i32 s18, 6
	s_cbranch_scc1 .LBB8_891
; %bb.889:
	s_cmp_gt_i32 s18, 6
	s_cbranch_scc0 .LBB8_892
; %bb.890:
	global_load_dwordx2 v[2:3], v[0:1], off
	s_mov_b64 s[18:19], 0
	s_branch .LBB8_893
.LBB8_891:
	s_mov_b64 s[18:19], -1
                                        ; implicit-def: $vgpr2_vgpr3
	s_branch .LBB8_896
.LBB8_892:
	s_mov_b64 s[18:19], -1
                                        ; implicit-def: $vgpr2_vgpr3
.LBB8_893:
	s_andn2_b64 vcc, exec, s[18:19]
	s_cbranch_vccnz .LBB8_895
; %bb.894:
	global_load_dword v2, v[0:1], off
	s_waitcnt vmcnt(0)
	v_cvt_f64_f32_e32 v[2:3], v2
.LBB8_895:
	s_mov_b64 s[18:19], 0
.LBB8_896:
	s_andn2_b64 vcc, exec, s[18:19]
	s_cbranch_vccnz .LBB8_898
; %bb.897:
	global_load_ushort v2, v[0:1], off
	s_waitcnt vmcnt(0)
	v_cvt_f32_f16_e32 v2, v2
	v_cvt_f64_f32_e32 v[2:3], v2
.LBB8_898:
	s_cbranch_execnz .LBB8_917
.LBB8_899:
	s_sext_i32_i16 s18, s42
	s_cmp_lt_i32 s18, 2
	s_cbranch_scc1 .LBB8_903
; %bb.900:
	s_cmp_lt_i32 s18, 3
	s_cbranch_scc1 .LBB8_904
; %bb.901:
	s_cmp_gt_i32 s18, 3
	s_cbranch_scc0 .LBB8_905
; %bb.902:
	global_load_dwordx2 v[2:3], v[0:1], off
	s_mov_b64 s[18:19], 0
	s_waitcnt vmcnt(0)
	v_cvt_f64_i32_e32 v[3:4], v3
	v_cvt_f64_u32_e32 v[5:6], v2
	v_ldexp_f64 v[3:4], v[3:4], 32
	v_add_f64 v[2:3], v[3:4], v[5:6]
	s_branch .LBB8_906
.LBB8_903:
                                        ; implicit-def: $vgpr2_vgpr3
	s_branch .LBB8_912
.LBB8_904:
	s_mov_b64 s[18:19], -1
                                        ; implicit-def: $vgpr2_vgpr3
	s_branch .LBB8_909
.LBB8_905:
	s_mov_b64 s[18:19], -1
                                        ; implicit-def: $vgpr2_vgpr3
.LBB8_906:
	s_andn2_b64 vcc, exec, s[18:19]
	s_cbranch_vccnz .LBB8_908
; %bb.907:
	global_load_dword v2, v[0:1], off
	s_waitcnt vmcnt(0)
	v_cvt_f64_i32_e32 v[2:3], v2
.LBB8_908:
	s_mov_b64 s[18:19], 0
.LBB8_909:
	s_andn2_b64 vcc, exec, s[18:19]
	s_cbranch_vccnz .LBB8_911
; %bb.910:
	global_load_sshort v2, v[0:1], off
	s_waitcnt vmcnt(0)
	v_cvt_f64_i32_e32 v[2:3], v2
.LBB8_911:
	s_cbranch_execnz .LBB8_917
.LBB8_912:
	s_sext_i32_i16 s18, s42
	s_cmp_gt_i32 s18, 0
	s_cbranch_scc0 .LBB8_914
; %bb.913:
	global_load_sbyte v2, v[0:1], off
	s_mov_b64 s[18:19], 0
	s_waitcnt vmcnt(0)
	v_cvt_f64_i32_e32 v[2:3], v2
	s_branch .LBB8_915
.LBB8_914:
	s_mov_b64 s[18:19], -1
                                        ; implicit-def: $vgpr2_vgpr3
.LBB8_915:
	s_andn2_b64 vcc, exec, s[18:19]
	s_cbranch_vccnz .LBB8_917
; %bb.916:
	global_load_ubyte v0, v[0:1], off
	s_waitcnt vmcnt(0)
	v_cvt_f64_u32_e32 v[2:3], v0
.LBB8_917:
	s_or_b64 s[0:1], s[0:1], exec
.LBB8_918:
	s_or_b64 exec, exec, s[14:15]
	s_mov_b64 s[20:21], 0
	s_mov_b64 s[18:19], 0
                                        ; implicit-def: $sgpr26
                                        ; implicit-def: $vgpr4_vgpr5
                                        ; implicit-def: $vgpr0_vgpr1
	s_and_saveexec_b64 s[14:15], s[0:1]
	s_cbranch_execz .LBB8_930
; %bb.919:
	s_mov_b32 s0, 0
	s_mov_b32 s1, 0x40200000
	s_waitcnt vmcnt(0)
	v_cmp_le_f64_e64 s[0:1], |v[2:3]|, s[0:1]
                                        ; implicit-def: $vgpr0_vgpr1
	s_and_saveexec_b64 s[18:19], s[0:1]
	s_xor_b64 s[0:1], exec, s[18:19]
	s_cbranch_execz .LBB8_921
; %bb.920:
	v_fma_f64 v[0:1], |v[2:3]|, 0.5, -2.0
	v_mov_b32_e32 v4, 0x977da589
	v_mov_b32_e32 v5, 0x3c833362
	s_mov_b32 s19, 0xbc545cb7
	s_mov_b32 s18, 0x2134d0ef
	;; [unrolled: 1-line block ×4, first 2 shown]
	v_mov_b32_e32 v10, 0xfca7ab0c
	v_fma_f64 v[4:5], v[0:1], s[18:19], v[4:5]
	s_mov_b32 s19, 0x3c545cb7
	v_mov_b32_e32 v11, 0x3e928af3
	v_fma_f64 v[6:7], v[0:1], v[4:5], s[18:19]
	s_mov_b32 s18, 0x721ebbb4
	s_mov_b32 s19, 0xbcb184eb
	v_add_f64 v[6:7], v[6:7], s[18:19]
	s_mov_b32 s18, 0x93f65eba
	s_mov_b32 s19, 0x3cdee6d8
	v_fma_f64 v[4:5], v[0:1], v[6:7], -v[4:5]
	v_add_f64 v[4:5], v[4:5], s[18:19]
	s_mov_b32 s18, 0xc297fbeb
	s_mov_b32 s19, 0xbd0a5022
	v_fma_f64 v[6:7], v[0:1], v[4:5], -v[6:7]
	;; [unrolled: 4-line block ×20, first 2 shown]
	v_add_f64 v[6:7], v[6:7], s[18:19]
	s_mov_b32 s18, 0x652b82fe
	s_mov_b32 s19, 0x3ff71547
	v_mul_f64 v[8:9], |v[2:3]|, s[18:19]
	s_mov_b32 s18, 0xf3dde3dd
	s_mov_b32 s19, 0x3f859961
	v_fma_f64 v[4:5], v[0:1], v[6:7], -v[4:5]
	v_rndne_f64_e32 v[8:9], v[8:9]
	v_add_f64 v[4:5], v[4:5], s[18:19]
	s_mov_b32 s18, 0xfefa39ef
	s_mov_b32 s19, 0xbfe62e42
	v_fma_f64 v[2:3], v[8:9], s[18:19], |v[2:3]|
	s_mov_b32 s18, 0xf121b6f0
	s_mov_b32 s19, 0xbf984e9e
	v_fma_f64 v[6:7], v[0:1], v[4:5], -v[6:7]
	v_fma_f64 v[2:3], v[8:9], s[20:21], v[2:3]
	s_mov_b32 s20, 0x623fde64
	s_mov_b32 s21, 0x3ec71dee
	v_add_f64 v[6:7], v[6:7], s[18:19]
	s_mov_b32 s18, 0x6a5dcb37
	s_mov_b32 s19, 0x3e5ade15
	v_fma_f64 v[10:11], v[2:3], s[18:19], v[10:11]
	s_mov_b32 s18, 0xcea8a32d
	s_mov_b32 s19, 0x3fa93e8a
	v_fma_f64 v[4:5], v[0:1], v[6:7], -v[4:5]
	v_fma_f64 v[10:11], v[2:3], v[10:11], s[20:21]
	s_mov_b32 s20, 0x14761f6e
	s_mov_b32 s21, 0x3f2a01a0
	v_add_f64 v[4:5], v[4:5], s[18:19]
	s_mov_b32 s18, 0x7c89e6b0
	s_mov_b32 s19, 0x3efa0199
	v_fma_f64 v[10:11], v[2:3], v[10:11], s[18:19]
	;; [unrolled: 10-line block ×4, first 2 shown]
	s_mov_b32 s18, 0xc057cd8d
	s_mov_b32 s19, 0xbfd37feb
	v_fma_f64 v[6:7], v[0:1], v[4:5], -v[6:7]
	v_fma_f64 v[10:11], v[2:3], v[10:11], s[20:21]
	v_add_f64 v[6:7], v[6:7], s[18:19]
	s_mov_b32 s18, 11
	s_mov_b32 s19, 0x3fe00000
	v_fma_f64 v[10:11], v[2:3], v[10:11], s[18:19]
	s_mov_b32 s18, 0x9035a22a
	s_mov_b32 s19, 0x3fe5a84e
	v_fma_f64 v[0:1], v[0:1], v[6:7], -v[4:5]
	v_fma_f64 v[6:7], v[2:3], v[10:11], 1.0
	v_add_f64 v[0:1], v[0:1], s[18:19]
	v_fma_f64 v[2:3], v[2:3], v[6:7], 1.0
	v_add_f64 v[0:1], v[0:1], -v[4:5]
	v_cvt_i32_f64_e32 v4, v[8:9]
	v_ldexp_f64 v[2:3], v[2:3], v4
	v_mul_f64 v[0:1], v[0:1], 0.5
	v_mul_f64 v[0:1], v[2:3], v[0:1]
                                        ; implicit-def: $vgpr2_vgpr3
.LBB8_921:
	s_andn2_saveexec_b64 s[18:19], s[0:1]
	s_cbranch_execz .LBB8_923
; %bb.922:
	s_mov_b32 s0, 0
	v_and_b32_e32 v1, 0x7fffffff, v3
	v_mov_b32_e32 v0, v2
	s_mov_b32 s1, 0x40400000
	v_div_scale_f64 v[4:5], s[20:21], v[0:1], v[0:1], s[0:1]
	v_div_scale_f64 v[0:1], vcc, s[0:1], v[0:1], s[0:1]
	s_mov_b32 s20, 0x3b39803f
	s_mov_b32 s21, 0xbc7abc9e
	v_mov_b32_e32 v12, 0xfca7ab0c
	v_mov_b32_e32 v13, 0x3e928af3
	s_mov_b32 s22, 0
	s_brev_b32 s23, 8
	v_mov_b32_e32 v15, 0x100
	v_rcp_f64_e32 v[6:7], v[4:5]
	v_fma_f64 v[8:9], -v[4:5], v[6:7], 1.0
	v_fma_f64 v[6:7], v[6:7], v[8:9], v[6:7]
	v_fma_f64 v[8:9], -v[4:5], v[6:7], 1.0
	v_fma_f64 v[6:7], v[6:7], v[8:9], v[6:7]
	v_mul_f64 v[8:9], v[0:1], v[6:7]
	v_fma_f64 v[0:1], -v[4:5], v[8:9], v[0:1]
	v_mov_b32_e32 v4, 0x66119130
	v_mov_b32_e32 v5, 0xbc5646da
	v_div_fmas_f64 v[0:1], v[0:1], v[6:7], v[8:9]
	v_cmp_lt_f64_e64 vcc, |v[2:3]|, s[22:23]
	v_cndmask_b32_e32 v15, 0, v15, vcc
	v_ldexp_f64 v[15:16], |v[2:3]|, v15
	v_div_fixup_f64 v[0:1], v[0:1], |v[2:3]|, s[0:1]
	s_mov_b32 s1, 0xbc60adb7
	s_mov_b32 s0, 0x54ca8b19
	v_rsq_f64_e32 v[17:18], v[15:16]
	v_add_f64 v[0:1], v[0:1], -2.0
	v_fma_f64 v[4:5], v[0:1], s[0:1], v[4:5]
	s_mov_b32 s1, 0x3c60adb7
	v_mul_f64 v[19:20], v[15:16], v[17:18]
	v_mul_f64 v[17:18], v[17:18], 0.5
	v_fma_f64 v[6:7], v[0:1], v[4:5], s[0:1]
	s_mov_b32 s0, 0x12d98421
	s_mov_b32 s1, 0x3c89be18
	v_fma_f64 v[21:22], -v[17:18], v[19:20], 0.5
	v_add_f64 v[6:7], v[6:7], s[0:1]
	s_mov_b32 s0, 0x76041cd
	s_mov_b32 s1, 0x3c83f3dd
	v_fma_f64 v[19:20], v[19:20], v[21:22], v[19:20]
	v_fma_f64 v[17:18], v[17:18], v[21:22], v[17:18]
	v_fma_f64 v[4:5], v[0:1], v[6:7], -v[4:5]
	v_fma_f64 v[21:22], -v[19:20], v[19:20], v[15:16]
	v_add_f64 v[4:5], v[4:5], s[0:1]
	s_mov_b32 s0, 0xabd21fe4
	s_mov_b32 s1, 0xbcb4600b
	v_fma_f64 v[6:7], v[0:1], v[4:5], -v[6:7]
	v_add_f64 v[6:7], v[6:7], s[0:1]
	s_mov_b32 s0, 0xd908de38
	s_mov_b32 s1, 0xbcb8aee7
	v_fma_f64 v[4:5], v[0:1], v[6:7], -v[4:5]
	;; [unrolled: 4-line block ×14, first 2 shown]
	v_add_f64 v[8:9], v[4:5], s[0:1]
	s_mov_b32 s0, 0x652b82fe
	s_mov_b32 s1, 0x3ff71547
	v_mul_f64 v[4:5], |v[2:3]|, s[0:1]
	s_mov_b32 s0, 0xa9225b87
	s_mov_b32 s1, 0x3e2d2c64
	v_fma_f64 v[6:7], v[0:1], v[8:9], -v[6:7]
	v_rndne_f64_e32 v[4:5], v[4:5]
	v_add_f64 v[10:11], v[6:7], s[0:1]
	s_mov_b32 s0, 0xfefa39ef
	s_mov_b32 s1, 0xbfe62e42
	v_fma_f64 v[6:7], v[4:5], s[0:1], |v[2:3]|
	s_mov_b32 s0, 0x80d6d56d
	s_mov_b32 s1, 0x3e585692
	v_fma_f64 v[8:9], v[0:1], v[10:11], -v[8:9]
	v_fma_f64 v[6:7], v[4:5], s[20:21], v[6:7]
	s_mov_b32 s20, 0x623fde64
	s_mov_b32 s21, 0x3ec71dee
	v_add_f64 v[8:9], v[8:9], s[0:1]
	s_mov_b32 s0, 0x6a5dcb37
	s_mov_b32 s1, 0x3e5ade15
	v_fma_f64 v[12:13], v[6:7], s[0:1], v[12:13]
	s_mov_b32 s0, 0xd9cd616e
	s_mov_b32 s1, 0x3e8b8007
	v_fma_f64 v[10:11], v[0:1], v[8:9], -v[10:11]
	v_fma_f64 v[12:13], v[6:7], v[12:13], s[20:21]
	s_mov_b32 s20, 0x14761f6e
	s_mov_b32 s21, 0x3f2a01a0
	v_add_f64 v[10:11], v[10:11], s[0:1]
	s_mov_b32 s0, 0x7c89e6b0
	s_mov_b32 s1, 0x3efa0199
	v_fma_f64 v[12:13], v[6:7], v[12:13], s[0:1]
	;; [unrolled: 10-line block ×4, first 2 shown]
	s_mov_b32 s0, 0xa2e59049
	s_mov_b32 s1, 0x3f6b998c
	v_fma_f64 v[8:9], v[0:1], v[10:11], -v[8:9]
	v_fma_f64 v[12:13], v[6:7], v[12:13], s[20:21]
	v_add_f64 v[8:9], v[8:9], s[0:1]
	s_mov_b32 s0, 11
	s_mov_b32 s1, 0x3fe00000
	v_fma_f64 v[12:13], v[6:7], v[12:13], s[0:1]
	s_mov_b32 s0, 0xaca809cb
	s_mov_b32 s1, 0x3fe9be62
	v_fma_f64 v[0:1], v[0:1], v[8:9], -v[10:11]
	v_fma_f64 v[8:9], v[21:22], v[17:18], v[19:20]
	v_fma_f64 v[12:13], v[6:7], v[12:13], 1.0
	v_add_f64 v[0:1], v[0:1], s[0:1]
	v_fma_f64 v[19:20], -v[8:9], v[8:9], v[15:16]
	s_mov_b32 s0, 0
	v_fma_f64 v[6:7], v[6:7], v[12:13], 1.0
	s_mov_b32 s1, 0x40900000
	v_cmp_ngt_f64_e64 s[0:1], |v[2:3]|, s[0:1]
	v_mov_b32_e32 v2, 0xffffff80
	v_cndmask_b32_e32 v2, 0, v2, vcc
	v_add_f64 v[0:1], v[0:1], -v[10:11]
	v_cvt_i32_f64_e32 v10, v[4:5]
	v_fma_f64 v[4:5], v[19:20], v[17:18], v[8:9]
	v_mov_b32_e32 v8, 0x7ff00000
	v_mov_b32_e32 v9, 0x260
	v_ldexp_f64 v[6:7], v[6:7], v10
	v_cmp_class_f64_e32 vcc, v[15:16], v9
	v_mul_f64 v[0:1], v[0:1], 0.5
	v_ldexp_f64 v[2:3], v[4:5], v2
	v_cndmask_b32_e64 v5, v8, v7, s[0:1]
	v_cndmask_b32_e64 v4, 0, v6, s[0:1]
	v_mul_f64 v[0:1], v[4:5], v[0:1]
	v_cndmask_b32_e32 v3, v3, v16, vcc
	v_cndmask_b32_e32 v2, v2, v15, vcc
	v_div_scale_f64 v[4:5], s[0:1], v[2:3], v[2:3], v[0:1]
	v_div_scale_f64 v[10:11], vcc, v[0:1], v[2:3], v[0:1]
	v_rcp_f64_e32 v[6:7], v[4:5]
	v_fma_f64 v[8:9], -v[4:5], v[6:7], 1.0
	v_fma_f64 v[6:7], v[6:7], v[8:9], v[6:7]
	v_fma_f64 v[8:9], -v[4:5], v[6:7], 1.0
	v_fma_f64 v[6:7], v[6:7], v[8:9], v[6:7]
	v_mul_f64 v[8:9], v[10:11], v[6:7]
	v_fma_f64 v[4:5], -v[4:5], v[8:9], v[10:11]
	v_div_fmas_f64 v[4:5], v[4:5], v[6:7], v[8:9]
	v_div_fixup_f64 v[0:1], v[4:5], v[2:3], v[0:1]
.LBB8_923:
	s_or_b64 exec, exec, s[18:19]
	v_mul_lo_u32 v2, v14, s2
	v_mov_b32_e32 v3, s9
	s_and_b32 s26, s33, 0xff
	s_cmp_lt_i32 s26, 11
	v_ashrrev_i32_e32 v5, 31, v2
	v_add_co_u32_e32 v4, vcc, s8, v2
	v_addc_co_u32_e32 v5, vcc, v3, v5, vcc
	s_cbranch_scc1 .LBB8_933
; %bb.924:
	s_and_b32 s27, 0xffff, s26
	s_mov_b64 s[20:21], -1
	s_cmp_gt_i32 s27, 25
	s_mov_b64 s[0:1], s[6:7]
	s_cbranch_scc0 .LBB8_961
; %bb.925:
	s_mov_b64 s[18:19], -1
	s_cmp_gt_i32 s27, 28
	s_mov_b64 s[0:1], s[6:7]
	s_cbranch_scc0 .LBB8_945
; %bb.926:
	s_cmp_gt_i32 s27, 43
	s_mov_b64 s[0:1], s[6:7]
	s_cbranch_scc0 .LBB8_941
; %bb.927:
	;; [unrolled: 4-line block ×3, first 2 shown]
	s_cmp_eq_u32 s27, 46
	s_mov_b64 s[0:1], -1
	s_cbranch_scc0 .LBB8_934
; %bb.929:
	v_cvt_f32_f64_e32 v2, v[0:1]
	s_movk_i32 s0, 0x7fff
	v_mov_b32_e32 v3, 0x7fc0
	s_mov_b64 s[18:19], 0
	v_bfe_u32 v6, v2, 16, 1
	v_cmp_o_f32_e32 vcc, v2, v2
	v_add3_u32 v2, v2, v6, s0
	v_cndmask_b32_sdwa v2, v3, v2, vcc dst_sel:DWORD dst_unused:UNUSED_PAD src0_sel:DWORD src1_sel:WORD_1
	global_store_dword v[4:5], v2, off
	s_mov_b64 s[0:1], 0
	s_branch .LBB8_935
.LBB8_930:
	s_or_b64 exec, exec, s[14:15]
	s_and_saveexec_b64 s[0:1], s[6:7]
	s_cbranch_execnz .LBB8_1003
.LBB8_931:
	s_or_b64 exec, exec, s[0:1]
	s_and_saveexec_b64 s[0:1], s[20:21]
	s_xor_b64 s[0:1], exec, s[0:1]
	s_cbranch_execz .LBB8_1004
.LBB8_932:
	v_cmp_neq_f64_e32 vcc, 0, v[0:1]
	s_waitcnt vmcnt(0)
	v_cndmask_b32_e64 v2, 0, 1, vcc
	global_store_byte v[4:5], v2, off
	s_or_b64 exec, exec, s[0:1]
	s_and_saveexec_b64 s[0:1], s[18:19]
	s_xor_b64 s[0:1], exec, s[0:1]
	s_cbranch_execz .LBB8_1042
	s_branch .LBB8_1005
.LBB8_933:
	s_mov_b64 s[20:21], 0
	s_mov_b64 s[18:19], -1
	s_mov_b64 s[0:1], s[6:7]
	s_branch .LBB8_1002
.LBB8_934:
	s_mov_b64 s[18:19], 0
.LBB8_935:
	s_and_b64 vcc, exec, s[18:19]
	s_cbranch_vccz .LBB8_940
; %bb.936:
	s_cmp_eq_u32 s27, 44
	s_mov_b64 s[0:1], -1
	s_cbranch_scc0 .LBB8_940
; %bb.937:
	v_cvt_f32_f64_e32 v2, v[0:1]
	s_movk_i32 s0, 0xff
	v_mov_b32_e32 v6, 0xff
	v_bfe_u32 v3, v2, 23, 8
	v_cmp_ne_u32_e32 vcc, s0, v3
	s_and_saveexec_b64 s[18:19], vcc
; %bb.938:
	s_mov_b32 s0, 0x3fffff
	v_lshrrev_b32_e32 v6, 23, v2
	v_and_b32_e32 v7, 0x400000, v2
	v_and_or_b32 v2, v2, s0, v3
	v_cmp_ne_u32_e32 vcc, 0, v7
	v_cmp_ne_u32_e64 s[0:1], 0, v2
	s_and_b64 s[0:1], vcc, s[0:1]
	v_cndmask_b32_e64 v2, 0, 1, s[0:1]
	v_add_u32_e32 v6, v6, v2
; %bb.939:
	s_or_b64 exec, exec, s[18:19]
	s_mov_b64 s[0:1], 0
	global_store_byte v[4:5], v6, off
.LBB8_940:
	s_mov_b64 s[18:19], 0
.LBB8_941:
	s_and_b64 vcc, exec, s[18:19]
	s_cbranch_vccz .LBB8_944
; %bb.942:
	s_cmp_eq_u32 s27, 29
	s_mov_b64 s[0:1], -1
	s_cbranch_scc0 .LBB8_944
; %bb.943:
	v_trunc_f64_e32 v[2:3], v[0:1]
	s_movk_i32 s0, 0xffe0
	s_mov_b64 s[18:19], 0
	v_ldexp_f64 v[6:7], v[2:3], s0
	s_mov_b32 s0, 0
	s_mov_b32 s1, 0xc1f00000
	v_floor_f64_e32 v[6:7], v[6:7]
	v_fma_f64 v[2:3], v[6:7], s[0:1], v[2:3]
	v_cvt_u32_f64_e32 v7, v[6:7]
	s_mov_b64 s[0:1], 0
	v_cvt_u32_f64_e32 v6, v[2:3]
	global_store_dwordx2 v[4:5], v[6:7], off
	s_branch .LBB8_945
.LBB8_944:
	s_mov_b64 s[18:19], 0
.LBB8_945:
	s_and_b64 vcc, exec, s[18:19]
	s_cbranch_vccz .LBB8_960
; %bb.946:
	s_cmp_lt_i32 s27, 27
	s_mov_b64 s[18:19], -1
	s_cbranch_scc1 .LBB8_952
; %bb.947:
	v_cvt_u32_f64_e32 v2, v[0:1]
	s_cmp_gt_i32 s27, 27
	s_cbranch_scc0 .LBB8_949
; %bb.948:
	s_mov_b64 s[18:19], 0
	global_store_dword v[4:5], v2, off
.LBB8_949:
	s_andn2_b64 vcc, exec, s[18:19]
	s_cbranch_vccnz .LBB8_951
; %bb.950:
	global_store_short v[4:5], v2, off
.LBB8_951:
	s_mov_b64 s[18:19], 0
.LBB8_952:
	s_andn2_b64 vcc, exec, s[18:19]
	s_cbranch_vccnz .LBB8_960
; %bb.953:
	v_cvt_f32_f64_e32 v2, v[0:1]
	s_mov_b32 s18, 0x43800000
	v_mov_b32_e32 v6, 0x80
	v_and_b32_e32 v3, 0x7fffffff, v2
	v_cmp_gt_u32_e32 vcc, s18, v3
	s_and_saveexec_b64 s[18:19], vcc
	s_cbranch_execz .LBB8_959
; %bb.954:
	s_mov_b32 s20, 0x3bffffff
	v_cmp_lt_u32_e32 vcc, s20, v3
	s_mov_b64 s[20:21], 0
                                        ; implicit-def: $vgpr3
	s_and_saveexec_b64 s[22:23], vcc
	s_xor_b64 s[22:23], exec, s[22:23]
	s_cbranch_execz .LBB8_1057
; %bb.955:
	v_bfe_u32 v3, v2, 20, 1
	s_mov_b32 s24, 0x487ffff
	v_add3_u32 v3, v2, v3, s24
	s_mov_b64 s[20:21], exec
	v_lshrrev_b32_e32 v3, 20, v3
	s_andn2_saveexec_b64 s[22:23], s[22:23]
	s_cbranch_execnz .LBB8_1058
.LBB8_956:
	s_or_b64 exec, exec, s[22:23]
	v_mov_b32_e32 v6, 0
	s_and_saveexec_b64 s[22:23], s[20:21]
.LBB8_957:
	v_lshrrev_b32_e32 v2, 24, v2
	s_movk_i32 s20, 0x80
	v_and_or_b32 v6, v2, s20, v3
.LBB8_958:
	s_or_b64 exec, exec, s[22:23]
.LBB8_959:
	s_or_b64 exec, exec, s[18:19]
	global_store_byte v[4:5], v6, off
.LBB8_960:
	s_mov_b64 s[20:21], 0
.LBB8_961:
	s_mov_b64 s[18:19], 0
	s_and_b64 vcc, exec, s[20:21]
	s_cbranch_vccz .LBB8_1001
; %bb.962:
	s_cmp_gt_i32 s27, 22
	s_mov_b64 s[20:21], -1
	s_cbranch_scc0 .LBB8_994
; %bb.963:
	s_cmp_lt_i32 s27, 24
	s_cbranch_scc1 .LBB8_983
; %bb.964:
	s_cmp_gt_i32 s27, 24
	s_cbranch_scc0 .LBB8_972
; %bb.965:
	v_cvt_f32_f64_e32 v2, v[0:1]
	s_mov_b32 s20, 0x47800000
	v_mov_b32_e32 v6, 0x80
	v_and_b32_e32 v3, 0x7fffffff, v2
	v_cmp_gt_u32_e32 vcc, s20, v3
	s_and_saveexec_b64 s[20:21], vcc
	s_cbranch_execz .LBB8_971
; %bb.966:
	s_mov_b32 s22, 0x37ffffff
	v_cmp_lt_u32_e32 vcc, s22, v3
	s_mov_b64 s[22:23], 0
                                        ; implicit-def: $vgpr3
	s_and_saveexec_b64 s[24:25], vcc
	s_xor_b64 s[24:25], exec, s[24:25]
	s_cbranch_execz .LBB8_1186
; %bb.967:
	v_bfe_u32 v3, v2, 21, 1
	s_mov_b32 s28, 0x88fffff
	v_add3_u32 v3, v2, v3, s28
	s_mov_b64 s[22:23], exec
	v_lshrrev_b32_e32 v3, 21, v3
	s_andn2_saveexec_b64 s[24:25], s[24:25]
	s_cbranch_execnz .LBB8_1187
.LBB8_968:
	s_or_b64 exec, exec, s[24:25]
	v_mov_b32_e32 v6, 0
	s_and_saveexec_b64 s[24:25], s[22:23]
.LBB8_969:
	v_lshrrev_b32_e32 v2, 24, v2
	s_movk_i32 s22, 0x80
	v_and_or_b32 v6, v2, s22, v3
.LBB8_970:
	s_or_b64 exec, exec, s[24:25]
.LBB8_971:
	s_or_b64 exec, exec, s[20:21]
	s_mov_b64 s[20:21], 0
	global_store_byte v[4:5], v6, off
.LBB8_972:
	s_and_b64 vcc, exec, s[20:21]
	s_cbranch_vccz .LBB8_982
; %bb.973:
	v_cvt_f32_f64_e32 v2, v[0:1]
	s_mov_b32 s20, 0x43f00000
                                        ; implicit-def: $vgpr3
	v_and_b32_e32 v6, 0x7fffffff, v2
	v_cmp_gt_u32_e32 vcc, s20, v6
	s_and_saveexec_b64 s[20:21], vcc
	s_xor_b64 s[20:21], exec, s[20:21]
	s_cbranch_execz .LBB8_979
; %bb.974:
	s_mov_b32 s22, 0x3c7fffff
	v_cmp_lt_u32_e32 vcc, s22, v6
                                        ; implicit-def: $vgpr3
	s_and_saveexec_b64 s[22:23], vcc
	s_xor_b64 s[22:23], exec, s[22:23]
; %bb.975:
	v_bfe_u32 v3, v2, 20, 1
	s_mov_b32 s24, 0x407ffff
	v_add3_u32 v3, v2, v3, s24
	v_lshrrev_b32_e32 v6, 20, v3
	v_and_b32_e32 v3, 0xff00000, v3
	s_mov_b32 s24, 0x7f00000
	v_mov_b32_e32 v7, 0x7e
	v_cmp_ne_u32_e32 vcc, s24, v3
	v_cndmask_b32_e32 v3, v7, v6, vcc
; %bb.976:
	s_andn2_saveexec_b64 s[22:23], s[22:23]
; %bb.977:
	s_mov_b32 s24, 0x46800000
	v_add_f32_e64 v3, |v2|, s24
; %bb.978:
	s_or_b64 exec, exec, s[22:23]
                                        ; implicit-def: $vgpr6
.LBB8_979:
	s_andn2_saveexec_b64 s[20:21], s[20:21]
; %bb.980:
	s_mov_b32 s22, 0x7f800000
	v_mov_b32_e32 v3, 0x7e
	v_mov_b32_e32 v7, 0x7f
	v_cmp_lt_u32_e32 vcc, s22, v6
	v_cndmask_b32_e32 v3, v3, v7, vcc
; %bb.981:
	s_or_b64 exec, exec, s[20:21]
	v_lshrrev_b32_e32 v2, 24, v2
	s_movk_i32 s20, 0x80
	v_and_or_b32 v2, v2, s20, v3
	global_store_byte v[4:5], v2, off
.LBB8_982:
	s_mov_b64 s[20:21], 0
.LBB8_983:
	s_andn2_b64 vcc, exec, s[20:21]
	s_cbranch_vccnz .LBB8_993
; %bb.984:
	v_cvt_f32_f64_e32 v2, v[0:1]
	s_mov_b32 s20, 0x47800000
                                        ; implicit-def: $vgpr3
	v_and_b32_e32 v6, 0x7fffffff, v2
	v_cmp_gt_u32_e32 vcc, s20, v6
	s_and_saveexec_b64 s[20:21], vcc
	s_xor_b64 s[20:21], exec, s[20:21]
	s_cbranch_execz .LBB8_990
; %bb.985:
	s_mov_b32 s22, 0x387fffff
	v_cmp_lt_u32_e32 vcc, s22, v6
                                        ; implicit-def: $vgpr3
	s_and_saveexec_b64 s[22:23], vcc
	s_xor_b64 s[22:23], exec, s[22:23]
; %bb.986:
	v_bfe_u32 v3, v2, 21, 1
	s_mov_b32 s24, 0x80fffff
	v_add3_u32 v3, v2, v3, s24
	v_lshrrev_b32_e32 v3, 21, v3
; %bb.987:
	s_andn2_saveexec_b64 s[22:23], s[22:23]
; %bb.988:
	s_mov_b32 s24, 0x43000000
	v_add_f32_e64 v3, |v2|, s24
; %bb.989:
	s_or_b64 exec, exec, s[22:23]
                                        ; implicit-def: $vgpr6
.LBB8_990:
	s_andn2_saveexec_b64 s[20:21], s[20:21]
; %bb.991:
	s_mov_b32 s22, 0x7f800000
	v_mov_b32_e32 v3, 0x7c
	v_mov_b32_e32 v7, 0x7f
	v_cmp_lt_u32_e32 vcc, s22, v6
	v_cndmask_b32_e32 v3, v3, v7, vcc
; %bb.992:
	s_or_b64 exec, exec, s[20:21]
	v_lshrrev_b32_e32 v2, 24, v2
	s_movk_i32 s20, 0x80
	v_and_or_b32 v2, v2, s20, v3
	global_store_byte v[4:5], v2, off
.LBB8_993:
	s_mov_b64 s[20:21], 0
.LBB8_994:
	s_andn2_b64 vcc, exec, s[20:21]
	s_mov_b64 s[20:21], 0
	s_cbranch_vccnz .LBB8_1002
; %bb.995:
	s_cmp_gt_i32 s27, 14
	s_mov_b64 s[22:23], -1
	s_cbranch_scc0 .LBB8_999
; %bb.996:
	s_cmp_eq_u32 s27, 15
	s_mov_b64 s[0:1], -1
	s_cbranch_scc0 .LBB8_998
; %bb.997:
	v_cvt_f32_f64_e32 v2, v[0:1]
	s_movk_i32 s0, 0x7fff
	v_mov_b32_e32 v3, 0x7fc0
	v_bfe_u32 v6, v2, 16, 1
	v_cmp_o_f32_e32 vcc, v2, v2
	v_add3_u32 v2, v2, v6, s0
	v_cndmask_b32_sdwa v2, v3, v2, vcc dst_sel:DWORD dst_unused:UNUSED_PAD src0_sel:DWORD src1_sel:WORD_1
	global_store_short v[4:5], v2, off
	s_mov_b64 s[0:1], 0
.LBB8_998:
	s_mov_b64 s[22:23], 0
.LBB8_999:
	s_and_b64 vcc, exec, s[22:23]
	s_cbranch_vccz .LBB8_1002
; %bb.1000:
	s_cmp_lg_u32 s27, 11
	s_cselect_b64 s[22:23], -1, 0
	s_andn2_b64 s[0:1], s[0:1], exec
	s_and_b64 s[22:23], s[22:23], exec
	s_mov_b64 s[20:21], -1
	s_or_b64 s[0:1], s[0:1], s[22:23]
	s_branch .LBB8_1002
.LBB8_1001:
	s_mov_b64 s[20:21], 0
.LBB8_1002:
	s_andn2_b64 s[6:7], s[6:7], exec
	s_and_b64 s[0:1], s[0:1], exec
	s_and_b64 s[18:19], s[18:19], exec
	;; [unrolled: 1-line block ×3, first 2 shown]
	s_or_b64 s[6:7], s[6:7], s[0:1]
	s_or_b64 exec, exec, s[14:15]
	s_and_saveexec_b64 s[0:1], s[6:7]
	s_cbranch_execz .LBB8_931
.LBB8_1003:
	s_or_b64 s[16:17], s[16:17], exec
	s_andn2_b64 s[20:21], s[20:21], exec
	s_trap 2
	s_or_b64 exec, exec, s[0:1]
	s_and_saveexec_b64 s[0:1], s[20:21]
	s_xor_b64 s[0:1], exec, s[0:1]
	s_cbranch_execnz .LBB8_932
.LBB8_1004:
	s_or_b64 exec, exec, s[0:1]
	s_and_saveexec_b64 s[0:1], s[18:19]
	s_xor_b64 s[0:1], exec, s[0:1]
	s_cbranch_execz .LBB8_1042
.LBB8_1005:
	s_sext_i32_i16 s14, s26
	s_cmp_lt_i32 s14, 5
	s_mov_b64 s[6:7], -1
	s_cbranch_scc1 .LBB8_1026
; %bb.1006:
	s_cmp_lt_i32 s14, 8
	s_cbranch_scc1 .LBB8_1016
; %bb.1007:
	s_cmp_lt_i32 s14, 9
	s_cbranch_scc1 .LBB8_1013
; %bb.1008:
	s_cmp_gt_i32 s14, 9
	s_cbranch_scc0 .LBB8_1010
; %bb.1009:
	s_waitcnt vmcnt(0)
	v_mov_b32_e32 v2, 0
	v_mov_b32_e32 v3, v2
	s_mov_b64 s[6:7], 0
	global_store_dwordx4 v[4:5], v[0:3], off
.LBB8_1010:
	s_andn2_b64 vcc, exec, s[6:7]
	s_cbranch_vccnz .LBB8_1012
; %bb.1011:
	s_waitcnt vmcnt(0)
	v_cvt_f32_f64_e32 v2, v[0:1]
	v_mov_b32_e32 v3, 0
	global_store_dwordx2 v[4:5], v[2:3], off
.LBB8_1012:
	s_mov_b64 s[6:7], 0
.LBB8_1013:
	s_andn2_b64 vcc, exec, s[6:7]
	s_cbranch_vccnz .LBB8_1015
; %bb.1014:
	s_movk_i32 s6, 0x1ff
	s_waitcnt vmcnt(0)
	v_and_or_b32 v2, v1, s6, v0
	v_cmp_ne_u32_e32 vcc, 0, v2
	v_cndmask_b32_e64 v2, 0, 1, vcc
	v_lshrrev_b32_e32 v3, 8, v1
	s_movk_i32 s6, 0xffe
	v_bfe_u32 v6, v1, 20, 11
	v_and_or_b32 v2, v3, s6, v2
	v_sub_u32_e32 v7, 0x3f1, v6
	v_or_b32_e32 v3, 0x1000, v2
	v_med3_i32 v7, v7, 0, 13
	v_lshrrev_b32_e32 v8, v7, v3
	v_lshlrev_b32_e32 v7, v7, v8
	v_cmp_ne_u32_e32 vcc, v7, v3
	v_cndmask_b32_e64 v3, 0, 1, vcc
	v_add_u32_e32 v6, 0xfffffc10, v6
	v_or_b32_e32 v3, v8, v3
	v_lshl_or_b32 v7, v6, 12, v2
	v_cmp_gt_i32_e32 vcc, 1, v6
	v_cndmask_b32_e32 v3, v7, v3, vcc
	v_and_b32_e32 v7, 7, v3
	v_cmp_lt_i32_e32 vcc, 5, v7
	v_cndmask_b32_e64 v8, 0, 1, vcc
	v_cmp_eq_u32_e32 vcc, 3, v7
	v_cndmask_b32_e64 v7, 0, 1, vcc
	v_or_b32_e32 v7, v7, v8
	v_lshrrev_b32_e32 v3, 2, v3
	v_add_u32_e32 v3, v3, v7
	v_mov_b32_e32 v7, 0x7c00
	v_cmp_gt_i32_e32 vcc, 31, v6
	v_cndmask_b32_e32 v3, v7, v3, vcc
	v_mov_b32_e32 v8, 0x7e00
	v_cmp_ne_u32_e32 vcc, 0, v2
	s_movk_i32 s6, 0x40f
	v_cndmask_b32_e32 v2, v7, v8, vcc
	v_cmp_eq_u32_e32 vcc, s6, v6
	v_cndmask_b32_e32 v2, v3, v2, vcc
	v_lshrrev_b32_e32 v3, 16, v1
	s_mov_b32 s6, 0x8000
	v_and_or_b32 v2, v3, s6, v2
	v_and_b32_e32 v2, 0xffff, v2
	global_store_dword v[4:5], v2, off
.LBB8_1015:
	s_mov_b64 s[6:7], 0
.LBB8_1016:
	s_andn2_b64 vcc, exec, s[6:7]
	s_cbranch_vccnz .LBB8_1025
; %bb.1017:
	s_sext_i32_i16 s14, s26
	s_cmp_lt_i32 s14, 6
	s_mov_b64 s[6:7], -1
	s_cbranch_scc1 .LBB8_1023
; %bb.1018:
	s_cmp_gt_i32 s14, 6
	s_cbranch_scc0 .LBB8_1020
; %bb.1019:
	s_mov_b64 s[6:7], 0
	global_store_dwordx2 v[4:5], v[0:1], off
.LBB8_1020:
	s_andn2_b64 vcc, exec, s[6:7]
	s_cbranch_vccnz .LBB8_1022
; %bb.1021:
	s_waitcnt vmcnt(0)
	v_cvt_f32_f64_e32 v2, v[0:1]
	global_store_dword v[4:5], v2, off
.LBB8_1022:
	s_mov_b64 s[6:7], 0
.LBB8_1023:
	s_andn2_b64 vcc, exec, s[6:7]
	s_cbranch_vccnz .LBB8_1025
; %bb.1024:
	s_movk_i32 s6, 0x1ff
	s_waitcnt vmcnt(0)
	v_and_or_b32 v2, v1, s6, v0
	v_cmp_ne_u32_e32 vcc, 0, v2
	v_cndmask_b32_e64 v2, 0, 1, vcc
	v_lshrrev_b32_e32 v3, 8, v1
	s_movk_i32 s6, 0xffe
	v_bfe_u32 v6, v1, 20, 11
	v_and_or_b32 v2, v3, s6, v2
	v_sub_u32_e32 v7, 0x3f1, v6
	v_or_b32_e32 v3, 0x1000, v2
	v_med3_i32 v7, v7, 0, 13
	v_lshrrev_b32_e32 v8, v7, v3
	v_lshlrev_b32_e32 v7, v7, v8
	v_cmp_ne_u32_e32 vcc, v7, v3
	v_cndmask_b32_e64 v3, 0, 1, vcc
	v_add_u32_e32 v6, 0xfffffc10, v6
	v_or_b32_e32 v3, v8, v3
	v_lshl_or_b32 v7, v6, 12, v2
	v_cmp_gt_i32_e32 vcc, 1, v6
	v_cndmask_b32_e32 v3, v7, v3, vcc
	v_and_b32_e32 v7, 7, v3
	v_cmp_lt_i32_e32 vcc, 5, v7
	v_cndmask_b32_e64 v8, 0, 1, vcc
	v_cmp_eq_u32_e32 vcc, 3, v7
	v_cndmask_b32_e64 v7, 0, 1, vcc
	v_or_b32_e32 v7, v7, v8
	v_lshrrev_b32_e32 v3, 2, v3
	v_add_u32_e32 v3, v3, v7
	v_mov_b32_e32 v7, 0x7c00
	v_cmp_gt_i32_e32 vcc, 31, v6
	v_cndmask_b32_e32 v3, v7, v3, vcc
	v_mov_b32_e32 v8, 0x7e00
	v_cmp_ne_u32_e32 vcc, 0, v2
	s_movk_i32 s6, 0x40f
	v_cndmask_b32_e32 v2, v7, v8, vcc
	v_cmp_eq_u32_e32 vcc, s6, v6
	v_cndmask_b32_e32 v2, v3, v2, vcc
	v_lshrrev_b32_e32 v3, 16, v1
	s_mov_b32 s6, 0x8000
	v_and_or_b32 v2, v3, s6, v2
	global_store_short v[4:5], v2, off
.LBB8_1025:
	s_mov_b64 s[6:7], 0
.LBB8_1026:
	s_andn2_b64 vcc, exec, s[6:7]
	s_cbranch_vccnz .LBB8_1042
; %bb.1027:
	s_sext_i32_i16 s14, s26
	s_cmp_lt_i32 s14, 2
	s_mov_b64 s[6:7], -1
	s_cbranch_scc1 .LBB8_1037
; %bb.1028:
	s_cmp_lt_i32 s14, 3
	s_cbranch_scc1 .LBB8_1034
; %bb.1029:
	s_cmp_gt_i32 s14, 3
	s_cbranch_scc0 .LBB8_1031
; %bb.1030:
	s_waitcnt vmcnt(0)
	v_trunc_f64_e32 v[2:3], v[0:1]
	s_movk_i32 s6, 0xffe0
	v_ldexp_f64 v[6:7], v[2:3], s6
	s_mov_b32 s6, 0
	s_mov_b32 s7, 0xc1f00000
	v_floor_f64_e32 v[6:7], v[6:7]
	v_fma_f64 v[2:3], v[6:7], s[6:7], v[2:3]
	v_cvt_i32_f64_e32 v7, v[6:7]
	s_mov_b64 s[6:7], 0
	v_cvt_u32_f64_e32 v6, v[2:3]
	global_store_dwordx2 v[4:5], v[6:7], off
.LBB8_1031:
	s_andn2_b64 vcc, exec, s[6:7]
	s_cbranch_vccnz .LBB8_1033
; %bb.1032:
	s_waitcnt vmcnt(0)
	v_cvt_i32_f64_e32 v2, v[0:1]
	global_store_dword v[4:5], v2, off
.LBB8_1033:
	s_mov_b64 s[6:7], 0
.LBB8_1034:
	s_andn2_b64 vcc, exec, s[6:7]
	s_cbranch_vccnz .LBB8_1036
; %bb.1035:
	s_waitcnt vmcnt(0)
	v_cvt_i32_f64_e32 v2, v[0:1]
	global_store_short v[4:5], v2, off
.LBB8_1036:
	s_mov_b64 s[6:7], 0
.LBB8_1037:
	s_andn2_b64 vcc, exec, s[6:7]
	s_cbranch_vccnz .LBB8_1042
; %bb.1038:
	s_sext_i32_i16 s6, s26
	s_cmp_gt_i32 s6, 0
	s_mov_b64 s[6:7], -1
	s_cbranch_scc0 .LBB8_1040
; %bb.1039:
	s_waitcnt vmcnt(0)
	v_cvt_i32_f64_e32 v2, v[0:1]
	s_mov_b64 s[6:7], 0
	global_store_byte v[4:5], v2, off
.LBB8_1040:
	s_andn2_b64 vcc, exec, s[6:7]
	s_cbranch_vccnz .LBB8_1042
; %bb.1041:
	v_trunc_f64_e32 v[0:1], v[0:1]
	s_movk_i32 s6, 0xffe0
	s_waitcnt vmcnt(0)
	v_ldexp_f64 v[2:3], v[0:1], s6
	s_mov_b32 s6, 0
	s_mov_b32 s7, 0xc1f00000
	v_floor_f64_e32 v[2:3], v[2:3]
	v_fma_f64 v[0:1], v[2:3], s[6:7], v[0:1]
	v_cvt_u32_f64_e32 v0, v[0:1]
	global_store_byte v[4:5], v0, off
.LBB8_1042:
	s_or_b64 exec, exec, s[0:1]
	s_and_b64 s[6:7], s[16:17], exec
                                        ; implicit-def: $vgpr14
.LBB8_1043:
	s_or_saveexec_b64 s[4:5], s[4:5]
	s_mov_b64 s[0:1], 0
                                        ; implicit-def: $sgpr20
                                        ; implicit-def: $vgpr0_vgpr1
                                        ; implicit-def: $vgpr12_vgpr13
	s_xor_b64 exec, exec, s[4:5]
	s_cbranch_execz .LBB8_1653
; %bb.1044:
	v_mul_lo_u32 v8, s3, v14
	v_mov_b32_e32 v1, s11
	s_and_b32 s22, 0xffff, s42
	s_cmp_lt_i32 s22, 11
	s_waitcnt vmcnt(0)
	v_ashrrev_i32_e32 v2, 31, v8
	v_add_co_u32_e32 v0, vcc, s10, v8
	v_addc_co_u32_e32 v1, vcc, v1, v2, vcc
	s_cbranch_scc1 .LBB8_1051
; %bb.1045:
	s_cmp_gt_i32 s22, 25
	s_cbranch_scc0 .LBB8_1053
; %bb.1046:
	s_cmp_gt_i32 s22, 28
	s_cbranch_scc0 .LBB8_1054
	;; [unrolled: 3-line block ×4, first 2 shown]
; %bb.1049:
	s_cmp_eq_u32 s22, 46
	s_mov_b64 s[14:15], 0
	s_cbranch_scc0 .LBB8_1059
; %bb.1050:
	global_load_dword v2, v[0:1], off
	s_mov_b64 s[16:17], -1
	s_waitcnt vmcnt(0)
	v_lshlrev_b32_e32 v2, 16, v2
	v_cvt_f64_f32_e32 v[2:3], v2
	s_branch .LBB8_1060
.LBB8_1051:
	s_mov_b64 s[16:17], 0
                                        ; implicit-def: $vgpr2_vgpr3
	s_mov_b64 s[14:15], s[6:7]
	s_cbranch_execnz .LBB8_1123
.LBB8_1052:
	s_andn2_b64 vcc, exec, s[16:17]
	s_cbranch_vccz .LBB8_1168
	s_branch .LBB8_1650
.LBB8_1053:
	s_mov_b64 s[16:17], 0
                                        ; implicit-def: $vgpr2_vgpr3
	s_cbranch_execnz .LBB8_1090
	s_branch .LBB8_1119
.LBB8_1054:
	s_mov_b64 s[14:15], -1
	s_mov_b64 s[16:17], 0
                                        ; implicit-def: $vgpr2_vgpr3
	s_branch .LBB8_1069
.LBB8_1055:
	s_mov_b64 s[16:17], 0
                                        ; implicit-def: $vgpr2_vgpr3
	s_cbranch_execnz .LBB8_1065
	s_branch .LBB8_1068
.LBB8_1056:
	s_mov_b64 s[14:15], -1
	s_mov_b64 s[16:17], 0
                                        ; implicit-def: $vgpr2_vgpr3
	s_branch .LBB8_1060
.LBB8_1057:
	s_andn2_saveexec_b64 s[22:23], s[22:23]
	s_cbranch_execz .LBB8_956
.LBB8_1058:
	s_mov_b32 s24, 0x46000000
	v_add_f32_e64 v3, |v2|, s24
	v_and_b32_e32 v3, 0xff, v3
	v_cmp_ne_u32_e32 vcc, 0, v3
	s_andn2_b64 s[20:21], s[20:21], exec
	s_and_b64 s[24:25], vcc, exec
	s_or_b64 s[20:21], s[20:21], s[24:25]
	s_or_b64 exec, exec, s[22:23]
	v_mov_b32_e32 v6, 0
	s_and_saveexec_b64 s[22:23], s[20:21]
	s_cbranch_execnz .LBB8_957
	s_branch .LBB8_958
.LBB8_1059:
	s_mov_b64 s[0:1], -1
                                        ; implicit-def: $vgpr2_vgpr3
	s_mov_b64 s[16:17], 0
.LBB8_1060:
	s_and_b64 vcc, exec, s[14:15]
	s_cbranch_vccz .LBB8_1063
; %bb.1061:
	s_cmp_eq_u32 s22, 44
	s_cbranch_scc0 .LBB8_1064
; %bb.1062:
	global_load_ubyte v4, v[0:1], off
	s_movk_i32 s14, 0xff
	v_bfrev_b32_e32 v5, 4
	v_mov_b32_e32 v6, 0x7ff80000
	v_bfrev_b32_e32 v7, 28
	s_mov_b64 s[0:1], 0
	s_mov_b64 s[16:17], -1
	s_waitcnt vmcnt(0)
	v_lshlrev_b32_e32 v2, 23, v4
	v_cvt_f64_f32_e32 v[2:3], v2
	v_cmp_ne_u32_e32 vcc, s14, v4
	v_cndmask_b32_e32 v2, v5, v2, vcc
	v_cndmask_b32_e32 v3, v6, v3, vcc
	v_cmp_ne_u32_e32 vcc, 0, v4
	v_cndmask_b32_e32 v3, v7, v3, vcc
	v_cndmask_b32_e32 v2, 0, v2, vcc
.LBB8_1063:
	s_branch .LBB8_1068
.LBB8_1064:
	s_mov_b64 s[0:1], -1
                                        ; implicit-def: $vgpr2_vgpr3
	s_branch .LBB8_1068
.LBB8_1065:
	s_cmp_eq_u32 s22, 29
	s_cbranch_scc0 .LBB8_1067
; %bb.1066:
	global_load_dwordx2 v[2:3], v[0:1], off
	s_mov_b64 s[0:1], 0
	s_mov_b64 s[16:17], -1
	s_mov_b64 s[14:15], 0
	s_waitcnt vmcnt(0)
	v_cvt_f64_u32_e32 v[3:4], v3
	v_cvt_f64_u32_e32 v[5:6], v2
	v_ldexp_f64 v[3:4], v[3:4], 32
	v_add_f64 v[2:3], v[3:4], v[5:6]
	s_branch .LBB8_1069
.LBB8_1067:
	s_mov_b64 s[0:1], -1
                                        ; implicit-def: $vgpr2_vgpr3
.LBB8_1068:
	s_mov_b64 s[14:15], 0
.LBB8_1069:
	s_and_b64 vcc, exec, s[14:15]
	s_cbranch_vccz .LBB8_1089
; %bb.1070:
	s_cmp_lt_i32 s22, 27
	s_cbranch_scc1 .LBB8_1073
; %bb.1071:
	s_cmp_gt_i32 s22, 27
	s_cbranch_scc0 .LBB8_1074
; %bb.1072:
	global_load_dword v2, v[0:1], off
	s_mov_b64 s[14:15], 0
	s_waitcnt vmcnt(0)
	v_cvt_f64_u32_e32 v[2:3], v2
	s_branch .LBB8_1075
.LBB8_1073:
	s_mov_b64 s[14:15], -1
                                        ; implicit-def: $vgpr2_vgpr3
	s_branch .LBB8_1078
.LBB8_1074:
	s_mov_b64 s[14:15], -1
                                        ; implicit-def: $vgpr2_vgpr3
.LBB8_1075:
	s_andn2_b64 vcc, exec, s[14:15]
	s_cbranch_vccnz .LBB8_1077
; %bb.1076:
	global_load_ushort v2, v[0:1], off
	s_waitcnt vmcnt(0)
	v_cvt_f64_u32_e32 v[2:3], v2
.LBB8_1077:
	s_mov_b64 s[14:15], 0
.LBB8_1078:
	s_andn2_b64 vcc, exec, s[14:15]
	s_cbranch_vccnz .LBB8_1088
; %bb.1079:
	global_load_ubyte v4, v[0:1], off
	s_movk_i32 s14, 0x7f
	s_waitcnt vmcnt(0)
	v_cmp_lt_i16_e32 vcc, s14, v4
	s_mov_b64 s[14:15], 0
	s_and_saveexec_b64 s[16:17], vcc
	s_xor_b64 s[16:17], exec, s[16:17]
	s_cbranch_execz .LBB8_1083
; %bb.1080:
	s_movk_i32 s14, 0x80
	v_cmp_eq_u16_e32 vcc, s14, v4
	s_mov_b64 s[14:15], -1
	s_and_saveexec_b64 s[18:19], vcc
; %bb.1081:
	s_xor_b64 s[14:15], exec, -1
; %bb.1082:
	s_or_b64 exec, exec, s[18:19]
	s_and_b64 s[14:15], s[14:15], exec
.LBB8_1083:
	s_or_saveexec_b64 s[16:17], s[16:17]
	v_bfrev_b32_e32 v2, 4
	v_mov_b32_e32 v3, 0x7ff80000
	s_xor_b64 exec, exec, s[16:17]
; %bb.1084:
	v_cmp_ne_u16_e32 vcc, 0, v4
	v_mov_b32_e32 v2, 0
	s_andn2_b64 s[14:15], s[14:15], exec
	s_and_b64 s[18:19], vcc, exec
	v_mov_b32_e32 v3, 0
	s_or_b64 s[14:15], s[14:15], s[18:19]
; %bb.1085:
	s_or_b64 exec, exec, s[16:17]
	s_and_saveexec_b64 s[16:17], s[14:15]
	s_cbranch_execz .LBB8_1087
; %bb.1086:
	v_and_b32_e32 v3, 0xffff, v4
	v_lshlrev_b32_e32 v2, 24, v4
	v_and_b32_e32 v4, 7, v3
	v_ffbh_u32_e32 v6, v4
	v_min_u32_e32 v6, 32, v6
	v_subrev_u32_e32 v7, 28, v6
	v_bfe_u32 v5, v3, 3, 4
	v_lshlrev_b32_e32 v3, v7, v3
	v_sub_u32_e32 v6, 29, v6
	v_and_b32_e32 v3, 7, v3
	v_cmp_eq_u32_e32 vcc, 0, v5
	v_cndmask_b32_e32 v5, v5, v6, vcc
	v_cndmask_b32_e32 v3, v4, v3, vcc
	v_mov_b32_e32 v4, 0x3b800000
	v_lshlrev_b32_e32 v3, 20, v3
	v_and_b32_e32 v2, 0x80000000, v2
	v_lshl_add_u32 v4, v5, 23, v4
	v_or3_b32 v2, v2, v4, v3
	v_cvt_f64_f32_e32 v[2:3], v2
.LBB8_1087:
	s_or_b64 exec, exec, s[16:17]
.LBB8_1088:
	s_mov_b64 s[16:17], -1
.LBB8_1089:
	s_branch .LBB8_1119
.LBB8_1090:
	s_cmp_gt_i32 s22, 22
	s_cbranch_scc0 .LBB8_1102
; %bb.1091:
	s_cmp_lt_i32 s22, 24
	s_cbranch_scc1 .LBB8_1103
; %bb.1092:
	s_cmp_gt_i32 s22, 24
	s_cbranch_scc0 .LBB8_1104
; %bb.1093:
	global_load_ubyte v4, v[0:1], off
	s_movk_i32 s12, 0x7f
	s_waitcnt vmcnt(0)
	v_cmp_lt_i16_e32 vcc, s12, v4
	s_mov_b64 s[12:13], 0
	s_and_saveexec_b64 s[14:15], vcc
	s_xor_b64 s[14:15], exec, s[14:15]
	s_cbranch_execz .LBB8_1097
; %bb.1094:
	s_movk_i32 s12, 0x80
	v_cmp_eq_u16_e32 vcc, s12, v4
	s_mov_b64 s[12:13], -1
	s_and_saveexec_b64 s[16:17], vcc
; %bb.1095:
	s_xor_b64 s[12:13], exec, -1
; %bb.1096:
	s_or_b64 exec, exec, s[16:17]
	s_and_b64 s[12:13], s[12:13], exec
.LBB8_1097:
	s_or_saveexec_b64 s[14:15], s[14:15]
	v_bfrev_b32_e32 v2, 4
	v_mov_b32_e32 v3, 0x7ff80000
	s_xor_b64 exec, exec, s[14:15]
; %bb.1098:
	v_cmp_ne_u16_e32 vcc, 0, v4
	v_mov_b32_e32 v2, 0
	s_andn2_b64 s[12:13], s[12:13], exec
	s_and_b64 s[16:17], vcc, exec
	v_mov_b32_e32 v3, 0
	s_or_b64 s[12:13], s[12:13], s[16:17]
; %bb.1099:
	s_or_b64 exec, exec, s[14:15]
	s_and_saveexec_b64 s[14:15], s[12:13]
	s_cbranch_execz .LBB8_1101
; %bb.1100:
	v_and_b32_e32 v3, 0xffff, v4
	v_lshlrev_b32_e32 v2, 24, v4
	v_and_b32_e32 v4, 3, v3
	v_ffbh_u32_e32 v6, v4
	v_min_u32_e32 v6, 32, v6
	v_subrev_u32_e32 v7, 29, v6
	v_bfe_u32 v5, v3, 2, 5
	v_lshlrev_b32_e32 v3, v7, v3
	v_sub_u32_e32 v6, 30, v6
	v_and_b32_e32 v3, 3, v3
	v_cmp_eq_u32_e32 vcc, 0, v5
	v_cndmask_b32_e32 v5, v5, v6, vcc
	v_cndmask_b32_e32 v3, v4, v3, vcc
	v_mov_b32_e32 v4, 0x37800000
	v_lshlrev_b32_e32 v3, 21, v3
	v_and_b32_e32 v2, 0x80000000, v2
	v_lshl_add_u32 v4, v5, 23, v4
	v_or3_b32 v2, v2, v4, v3
	v_cvt_f64_f32_e32 v[2:3], v2
.LBB8_1101:
	s_or_b64 exec, exec, s[14:15]
	s_mov_b64 s[12:13], 0
	s_branch .LBB8_1105
.LBB8_1102:
                                        ; implicit-def: $vgpr2_vgpr3
	s_mov_b64 s[12:13], 0
	s_branch .LBB8_1111
.LBB8_1103:
	s_mov_b64 s[12:13], -1
                                        ; implicit-def: $vgpr2_vgpr3
	s_branch .LBB8_1108
.LBB8_1104:
	s_mov_b64 s[12:13], -1
                                        ; implicit-def: $vgpr2_vgpr3
.LBB8_1105:
	s_and_b64 vcc, exec, s[12:13]
	s_cbranch_vccz .LBB8_1107
; %bb.1106:
	global_load_ubyte v2, v[0:1], off
	s_mov_b32 s12, 0x7f800000
	s_waitcnt vmcnt(0)
	v_lshlrev_b32_e32 v2, 24, v2
	v_and_b32_e32 v3, 0x7f000000, v2
	v_ffbh_u32_e32 v4, v3
	v_min_u32_e32 v4, 32, v4
	v_sub_u32_e64 v4, v4, 4 clamp
	v_lshlrev_b32_e32 v6, v4, v3
	v_lshlrev_b32_e32 v4, 23, v4
	v_lshrrev_b32_e32 v6, 4, v6
	v_add_u32_e32 v5, 0x1000000, v3
	v_sub_u32_e32 v4, v6, v4
	v_ashrrev_i32_e32 v5, 8, v5
	v_add_u32_e32 v4, 0x3c000000, v4
	v_and_or_b32 v4, v5, s12, v4
	v_cmp_ne_u32_e32 vcc, 0, v3
	v_cndmask_b32_e32 v3, 0, v4, vcc
	s_brev_b32 s12, 1
	v_and_or_b32 v2, v2, s12, v3
	v_cvt_f64_f32_e32 v[2:3], v2
.LBB8_1107:
	s_mov_b64 s[12:13], 0
.LBB8_1108:
	s_andn2_b64 vcc, exec, s[12:13]
	s_cbranch_vccnz .LBB8_1110
; %bb.1109:
	global_load_ubyte v2, v[0:1], off
	s_movk_i32 s12, 0x7f00
	s_brev_b32 s13, 16
	s_waitcnt vmcnt(0)
	v_lshlrev_b16_e32 v3, 8, v2
	v_lshlrev_b32_e32 v2, 25, v2
	v_lshrrev_b32_e32 v4, 4, v2
	v_and_or_b32 v5, v3, s12, 0.5
	v_or_b32_e32 v4, 0x70000000, v4
	v_add_f32_e32 v5, -0.5, v5
	v_mul_f32_e32 v4, 0x7800000, v4
	v_cmp_gt_u32_e32 vcc, s13, v2
	v_bfe_i32 v3, v3, 0, 16
	v_cndmask_b32_e32 v2, v4, v5, vcc
	s_brev_b32 s12, 1
	v_and_or_b32 v2, v3, s12, v2
	v_cvt_f64_f32_e32 v[2:3], v2
.LBB8_1110:
	s_mov_b64 s[16:17], -1
	s_mov_b64 s[12:13], 0
	s_cbranch_execnz .LBB8_1119
.LBB8_1111:
	s_cmp_gt_i32 s22, 14
	s_cbranch_scc0 .LBB8_1114
; %bb.1112:
	s_cmp_eq_u32 s22, 15
	s_cbranch_scc0 .LBB8_1115
; %bb.1113:
	global_load_ushort v2, v[0:1], off
	s_mov_b64 s[0:1], 0
	s_mov_b64 s[16:17], -1
	s_waitcnt vmcnt(0)
	v_lshlrev_b32_e32 v2, 16, v2
	v_cvt_f64_f32_e32 v[2:3], v2
	s_branch .LBB8_1116
.LBB8_1114:
	s_mov_b64 s[14:15], -1
                                        ; implicit-def: $vgpr2_vgpr3
	s_branch .LBB8_1117
.LBB8_1115:
	s_mov_b64 s[0:1], -1
                                        ; implicit-def: $vgpr2_vgpr3
.LBB8_1116:
	s_mov_b64 s[14:15], 0
.LBB8_1117:
	s_and_b64 vcc, exec, s[14:15]
	s_cbranch_vccz .LBB8_1119
; %bb.1118:
	s_cmp_lg_u32 s22, 11
	s_mov_b64 s[12:13], -1
	s_cselect_b64 s[0:1], -1, 0
.LBB8_1119:
	s_and_b64 vcc, exec, s[0:1]
	s_mov_b64 s[14:15], s[6:7]
	s_cbranch_vccnz .LBB8_1184
; %bb.1120:
	s_andn2_b64 vcc, exec, s[12:13]
	s_cbranch_vccnz .LBB8_1122
.LBB8_1121:
	global_load_ubyte v3, v[0:1], off
	v_mov_b32_e32 v4, 0x3ff00000
	v_mov_b32_e32 v2, 0
	s_mov_b64 s[16:17], -1
	s_waitcnt vmcnt(0)
	v_cmp_ne_u16_e32 vcc, 0, v3
	v_cndmask_b32_e32 v3, 0, v4, vcc
.LBB8_1122:
	s_branch .LBB8_1052
.LBB8_1123:
	s_cmp_lt_i32 s22, 5
	s_cbranch_scc1 .LBB8_1128
; %bb.1124:
	s_cmp_lt_i32 s22, 8
	s_cbranch_scc1 .LBB8_1129
; %bb.1125:
	;; [unrolled: 3-line block ×3, first 2 shown]
	s_cmp_gt_i32 s22, 9
	s_cbranch_scc0 .LBB8_1131
; %bb.1127:
	global_load_dwordx2 v[2:3], v[0:1], off
	s_mov_b64 s[0:1], 0
	s_branch .LBB8_1132
.LBB8_1128:
                                        ; implicit-def: $vgpr2_vgpr3
	s_branch .LBB8_1149
.LBB8_1129:
                                        ; implicit-def: $vgpr2_vgpr3
	s_branch .LBB8_1138
.LBB8_1130:
	s_mov_b64 s[0:1], -1
                                        ; implicit-def: $vgpr2_vgpr3
	s_branch .LBB8_1135
.LBB8_1131:
	s_mov_b64 s[0:1], -1
                                        ; implicit-def: $vgpr2_vgpr3
.LBB8_1132:
	s_andn2_b64 vcc, exec, s[0:1]
	s_cbranch_vccnz .LBB8_1134
; %bb.1133:
	global_load_dword v2, v[0:1], off
	s_waitcnt vmcnt(0)
	v_cvt_f64_f32_e32 v[2:3], v2
.LBB8_1134:
	s_mov_b64 s[0:1], 0
.LBB8_1135:
	s_andn2_b64 vcc, exec, s[0:1]
	s_cbranch_vccnz .LBB8_1137
; %bb.1136:
	global_load_dword v2, v[0:1], off
	s_waitcnt vmcnt(0)
	v_cvt_f32_f16_e32 v2, v2
	v_cvt_f64_f32_e32 v[2:3], v2
.LBB8_1137:
	s_cbranch_execnz .LBB8_1148
.LBB8_1138:
	s_cmp_lt_i32 s22, 6
	s_cbranch_scc1 .LBB8_1141
; %bb.1139:
	s_cmp_gt_i32 s22, 6
	s_cbranch_scc0 .LBB8_1142
; %bb.1140:
	global_load_dwordx2 v[2:3], v[0:1], off
	s_mov_b64 s[0:1], 0
	s_branch .LBB8_1143
.LBB8_1141:
	s_mov_b64 s[0:1], -1
                                        ; implicit-def: $vgpr2_vgpr3
	s_branch .LBB8_1146
.LBB8_1142:
	s_mov_b64 s[0:1], -1
                                        ; implicit-def: $vgpr2_vgpr3
.LBB8_1143:
	s_andn2_b64 vcc, exec, s[0:1]
	s_cbranch_vccnz .LBB8_1145
; %bb.1144:
	global_load_dword v2, v[0:1], off
	s_waitcnt vmcnt(0)
	v_cvt_f64_f32_e32 v[2:3], v2
.LBB8_1145:
	s_mov_b64 s[0:1], 0
.LBB8_1146:
	s_andn2_b64 vcc, exec, s[0:1]
	s_cbranch_vccnz .LBB8_1148
; %bb.1147:
	global_load_ushort v2, v[0:1], off
	s_waitcnt vmcnt(0)
	v_cvt_f32_f16_e32 v2, v2
	v_cvt_f64_f32_e32 v[2:3], v2
.LBB8_1148:
	s_cbranch_execnz .LBB8_1167
.LBB8_1149:
	s_cmp_lt_i32 s22, 2
	s_cbranch_scc1 .LBB8_1153
; %bb.1150:
	s_cmp_lt_i32 s22, 3
	s_cbranch_scc1 .LBB8_1154
; %bb.1151:
	s_cmp_gt_i32 s22, 3
	s_cbranch_scc0 .LBB8_1155
; %bb.1152:
	global_load_dwordx2 v[2:3], v[0:1], off
	s_mov_b64 s[0:1], 0
	s_waitcnt vmcnt(0)
	v_cvt_f64_i32_e32 v[3:4], v3
	v_cvt_f64_u32_e32 v[5:6], v2
	v_ldexp_f64 v[3:4], v[3:4], 32
	v_add_f64 v[2:3], v[3:4], v[5:6]
	s_branch .LBB8_1156
.LBB8_1153:
                                        ; implicit-def: $vgpr2_vgpr3
	s_branch .LBB8_1162
.LBB8_1154:
	s_mov_b64 s[0:1], -1
                                        ; implicit-def: $vgpr2_vgpr3
	s_branch .LBB8_1159
.LBB8_1155:
	s_mov_b64 s[0:1], -1
                                        ; implicit-def: $vgpr2_vgpr3
.LBB8_1156:
	s_andn2_b64 vcc, exec, s[0:1]
	s_cbranch_vccnz .LBB8_1158
; %bb.1157:
	global_load_dword v2, v[0:1], off
	s_waitcnt vmcnt(0)
	v_cvt_f64_i32_e32 v[2:3], v2
.LBB8_1158:
	s_mov_b64 s[0:1], 0
.LBB8_1159:
	s_andn2_b64 vcc, exec, s[0:1]
	s_cbranch_vccnz .LBB8_1161
; %bb.1160:
	global_load_sshort v2, v[0:1], off
	s_waitcnt vmcnt(0)
	v_cvt_f64_i32_e32 v[2:3], v2
.LBB8_1161:
	s_cbranch_execnz .LBB8_1167
.LBB8_1162:
	s_cmp_gt_i32 s22, 0
	s_cbranch_scc0 .LBB8_1164
; %bb.1163:
	global_load_sbyte v2, v[0:1], off
	s_mov_b64 s[0:1], 0
	s_waitcnt vmcnt(0)
	v_cvt_f64_i32_e32 v[2:3], v2
	s_branch .LBB8_1165
.LBB8_1164:
	s_mov_b64 s[0:1], -1
                                        ; implicit-def: $vgpr2_vgpr3
.LBB8_1165:
	s_andn2_b64 vcc, exec, s[0:1]
	s_cbranch_vccnz .LBB8_1167
; %bb.1166:
	global_load_ubyte v0, v[0:1], off
	s_waitcnt vmcnt(0)
	v_cvt_f64_u32_e32 v[2:3], v0
.LBB8_1167:
.LBB8_1168:
	s_mov_b32 s0, 0
	s_mov_b32 s1, 0x40200000
	s_waitcnt vmcnt(0)
	v_cmp_le_f64_e64 s[0:1], |v[2:3]|, s[0:1]
                                        ; implicit-def: $vgpr0_vgpr1
	s_and_saveexec_b64 s[12:13], s[0:1]
	s_xor_b64 s[0:1], exec, s[12:13]
	s_cbranch_execz .LBB8_1170
; %bb.1169:
	v_fma_f64 v[0:1], |v[2:3]|, 0.5, -2.0
	v_mov_b32_e32 v4, 0x977da589
	v_mov_b32_e32 v5, 0x3c833362
	s_mov_b32 s13, 0xbc545cb7
	s_mov_b32 s12, 0x2134d0ef
	;; [unrolled: 1-line block ×4, first 2 shown]
	v_mov_b32_e32 v11, 0xfca7ab0c
	v_fma_f64 v[4:5], v[0:1], s[12:13], v[4:5]
	s_mov_b32 s13, 0x3c545cb7
	v_mov_b32_e32 v12, 0x3e928af3
	v_fma_f64 v[6:7], v[0:1], v[4:5], s[12:13]
	s_mov_b32 s12, 0x721ebbb4
	s_mov_b32 s13, 0xbcb184eb
	v_add_f64 v[6:7], v[6:7], s[12:13]
	s_mov_b32 s12, 0x93f65eba
	s_mov_b32 s13, 0x3cdee6d8
	v_fma_f64 v[4:5], v[0:1], v[6:7], -v[4:5]
	v_add_f64 v[4:5], v[4:5], s[12:13]
	s_mov_b32 s12, 0xc297fbeb
	s_mov_b32 s13, 0xbd0a5022
	v_fma_f64 v[6:7], v[0:1], v[4:5], -v[6:7]
	v_add_f64 v[6:7], v[6:7], s[12:13]
	s_mov_b32 s12, 0x4b262627
	s_mov_b32 s13, 0x3d359b46
	v_fma_f64 v[4:5], v[0:1], v[6:7], -v[4:5]
	v_add_f64 v[4:5], v[4:5], s[12:13]
	s_mov_b32 s12, 0x62ee1af0
	s_mov_b32 s13, 0xbd61164c
	v_fma_f64 v[6:7], v[0:1], v[4:5], -v[6:7]
	v_add_f64 v[6:7], v[6:7], s[12:13]
	s_mov_b32 s12, 0xe19bd324
	s_mov_b32 s13, 0x3d89fe2f
	v_fma_f64 v[4:5], v[0:1], v[6:7], -v[4:5]
	v_add_f64 v[4:5], v[4:5], s[12:13]
	s_mov_b32 s12, 0x7a946abc
	s_mov_b32 s13, 0xbdb2fc95
	v_fma_f64 v[6:7], v[0:1], v[4:5], -v[6:7]
	v_add_f64 v[6:7], v[6:7], s[12:13]
	s_mov_b32 s12, 0xcc743c10
	s_mov_b32 s13, 0x3dda98be
	v_fma_f64 v[4:5], v[0:1], v[6:7], -v[4:5]
	v_add_f64 v[4:5], v[4:5], s[12:13]
	s_mov_b32 s12, 0x13ae9556
	s_mov_b32 s13, 0xbe01d4fe
	v_fma_f64 v[6:7], v[0:1], v[4:5], -v[6:7]
	v_add_f64 v[6:7], v[6:7], s[12:13]
	s_mov_b32 s12, 0xa454cb34
	s_mov_b32 s13, 0x3e26d903
	v_fma_f64 v[4:5], v[0:1], v[6:7], -v[4:5]
	v_add_f64 v[4:5], v[4:5], s[12:13]
	s_mov_b32 s12, 0x8c0b30ab
	s_mov_b32 s13, 0xbe4beaf6
	v_fma_f64 v[6:7], v[0:1], v[4:5], -v[6:7]
	v_add_f64 v[6:7], v[6:7], s[12:13]
	s_mov_b32 s12, 0x9d4d6435
	s_mov_b32 s13, 0x3e703b76
	v_fma_f64 v[4:5], v[0:1], v[6:7], -v[4:5]
	v_add_f64 v[4:5], v[4:5], s[12:13]
	s_mov_b32 s12, 0x8f227f8d
	s_mov_b32 s13, 0xbe91ec63
	v_fma_f64 v[6:7], v[0:1], v[4:5], -v[6:7]
	v_add_f64 v[6:7], v[6:7], s[12:13]
	s_mov_b32 s12, 0x978cf4ac
	s_mov_b32 s13, 0x3eb2bf24
	v_fma_f64 v[4:5], v[0:1], v[6:7], -v[4:5]
	v_add_f64 v[4:5], v[4:5], s[12:13]
	s_mov_b32 s12, 0xcba56427
	s_mov_b32 s13, 0xbed2866f
	v_fma_f64 v[6:7], v[0:1], v[4:5], -v[6:7]
	v_add_f64 v[6:7], v[6:7], s[12:13]
	s_mov_b32 s12, 0xbe9a2859
	s_mov_b32 s13, 0x3ef13f58
	v_fma_f64 v[4:5], v[0:1], v[6:7], -v[4:5]
	v_add_f64 v[4:5], v[4:5], s[12:13]
	s_mov_b32 s12, 0x59c41d5a
	s_mov_b32 s13, 0xbf0e2b26
	v_fma_f64 v[6:7], v[0:1], v[4:5], -v[6:7]
	v_add_f64 v[6:7], v[6:7], s[12:13]
	s_mov_b32 s12, 0x74107cab
	s_mov_b32 s13, 0x3f28b51b
	v_fma_f64 v[4:5], v[0:1], v[6:7], -v[4:5]
	v_add_f64 v[4:5], v[4:5], s[12:13]
	s_mov_b32 s12, 0x1f15eb52
	s_mov_b32 s13, 0xbf42e2fd
	v_fma_f64 v[6:7], v[0:1], v[4:5], -v[6:7]
	v_add_f64 v[6:7], v[6:7], s[12:13]
	s_mov_b32 s12, 0x8a12100e
	s_mov_b32 s13, 0x3f5adc75
	v_fma_f64 v[4:5], v[0:1], v[6:7], -v[4:5]
	v_add_f64 v[4:5], v[4:5], s[12:13]
	s_mov_b32 s12, 0x201aa849
	s_mov_b32 s13, 0xbf71b65e
	v_fma_f64 v[6:7], v[0:1], v[4:5], -v[6:7]
	v_add_f64 v[6:7], v[6:7], s[12:13]
	s_mov_b32 s12, 0x652b82fe
	s_mov_b32 s13, 0x3ff71547
	v_mul_f64 v[9:10], |v[2:3]|, s[12:13]
	s_mov_b32 s12, 0xf3dde3dd
	s_mov_b32 s13, 0x3f859961
	v_fma_f64 v[4:5], v[0:1], v[6:7], -v[4:5]
	v_rndne_f64_e32 v[9:10], v[9:10]
	v_add_f64 v[4:5], v[4:5], s[12:13]
	s_mov_b32 s12, 0xfefa39ef
	s_mov_b32 s13, 0xbfe62e42
	v_fma_f64 v[2:3], v[9:10], s[12:13], |v[2:3]|
	s_mov_b32 s12, 0xf121b6f0
	s_mov_b32 s13, 0xbf984e9e
	v_fma_f64 v[6:7], v[0:1], v[4:5], -v[6:7]
	v_fma_f64 v[2:3], v[9:10], s[16:17], v[2:3]
	s_mov_b32 s16, 0x623fde64
	s_mov_b32 s17, 0x3ec71dee
	v_add_f64 v[6:7], v[6:7], s[12:13]
	s_mov_b32 s12, 0x6a5dcb37
	s_mov_b32 s13, 0x3e5ade15
	v_fma_f64 v[11:12], v[2:3], s[12:13], v[11:12]
	s_mov_b32 s12, 0xcea8a32d
	s_mov_b32 s13, 0x3fa93e8a
	v_fma_f64 v[4:5], v[0:1], v[6:7], -v[4:5]
	v_fma_f64 v[11:12], v[2:3], v[11:12], s[16:17]
	s_mov_b32 s16, 0x14761f6e
	s_mov_b32 s17, 0x3f2a01a0
	v_add_f64 v[4:5], v[4:5], s[12:13]
	s_mov_b32 s12, 0x7c89e6b0
	s_mov_b32 s13, 0x3efa0199
	v_fma_f64 v[11:12], v[2:3], v[11:12], s[12:13]
	;; [unrolled: 10-line block ×4, first 2 shown]
	s_mov_b32 s12, 0xc057cd8d
	s_mov_b32 s13, 0xbfd37feb
	v_fma_f64 v[6:7], v[0:1], v[4:5], -v[6:7]
	v_fma_f64 v[11:12], v[2:3], v[11:12], s[16:17]
	v_add_f64 v[6:7], v[6:7], s[12:13]
	s_mov_b32 s12, 11
	s_mov_b32 s13, 0x3fe00000
	v_fma_f64 v[11:12], v[2:3], v[11:12], s[12:13]
	s_mov_b32 s12, 0x9035a22a
	s_mov_b32 s13, 0x3fe5a84e
	v_fma_f64 v[0:1], v[0:1], v[6:7], -v[4:5]
	v_fma_f64 v[6:7], v[2:3], v[11:12], 1.0
	v_add_f64 v[0:1], v[0:1], s[12:13]
	v_fma_f64 v[2:3], v[2:3], v[6:7], 1.0
	v_add_f64 v[0:1], v[0:1], -v[4:5]
	v_cvt_i32_f64_e32 v4, v[9:10]
	v_ldexp_f64 v[2:3], v[2:3], v4
	v_mul_f64 v[0:1], v[0:1], 0.5
	v_mul_f64 v[0:1], v[2:3], v[0:1]
                                        ; implicit-def: $vgpr2_vgpr3
.LBB8_1170:
	s_andn2_saveexec_b64 s[12:13], s[0:1]
	s_cbranch_execz .LBB8_1172
; %bb.1171:
	s_mov_b32 s0, 0
	v_and_b32_e32 v1, 0x7fffffff, v3
	v_mov_b32_e32 v0, v2
	s_mov_b32 s1, 0x40400000
	v_div_scale_f64 v[4:5], s[16:17], v[0:1], v[0:1], s[0:1]
	v_div_scale_f64 v[0:1], vcc, s[0:1], v[0:1], s[0:1]
	s_mov_b32 s16, 0x3b39803f
	s_mov_b32 s17, 0xbc7abc9e
	v_mov_b32_e32 v15, 0xfca7ab0c
	v_mov_b32_e32 v16, 0x3e928af3
	s_mov_b32 s18, 0x623fde64
	s_mov_b32 s19, 0x3ec71dee
	v_mov_b32_e32 v13, 0x100
	v_rcp_f64_e32 v[6:7], v[4:5]
	v_fma_f64 v[9:10], -v[4:5], v[6:7], 1.0
	v_fma_f64 v[6:7], v[6:7], v[9:10], v[6:7]
	v_fma_f64 v[9:10], -v[4:5], v[6:7], 1.0
	v_fma_f64 v[6:7], v[6:7], v[9:10], v[6:7]
	v_mul_f64 v[9:10], v[0:1], v[6:7]
	v_fma_f64 v[0:1], -v[4:5], v[9:10], v[0:1]
	v_mov_b32_e32 v4, 0x66119130
	v_mov_b32_e32 v5, 0xbc5646da
	v_div_fmas_f64 v[0:1], v[0:1], v[6:7], v[9:10]
	v_div_fixup_f64 v[0:1], v[0:1], |v[2:3]|, s[0:1]
	s_mov_b32 s1, 0xbc60adb7
	s_mov_b32 s0, 0x54ca8b19
	v_add_f64 v[0:1], v[0:1], -2.0
	v_fma_f64 v[4:5], v[0:1], s[0:1], v[4:5]
	s_mov_b32 s1, 0x3c60adb7
	v_fma_f64 v[6:7], v[0:1], v[4:5], s[0:1]
	s_mov_b32 s0, 0x12d98421
	s_mov_b32 s1, 0x3c89be18
	v_add_f64 v[6:7], v[6:7], s[0:1]
	s_mov_b32 s0, 0x76041cd
	s_mov_b32 s1, 0x3c83f3dd
	v_fma_f64 v[4:5], v[0:1], v[6:7], -v[4:5]
	v_add_f64 v[4:5], v[4:5], s[0:1]
	s_mov_b32 s0, 0xabd21fe4
	s_mov_b32 s1, 0xbcb4600b
	v_fma_f64 v[6:7], v[0:1], v[4:5], -v[6:7]
	;; [unrolled: 4-line block ×15, first 2 shown]
	v_add_f64 v[6:7], v[6:7], s[0:1]
	s_mov_b32 s0, 0x652b82fe
	s_mov_b32 s1, 0x3ff71547
	v_mul_f64 v[9:10], |v[2:3]|, s[0:1]
	s_mov_b32 s0, 0xa9225b87
	s_mov_b32 s1, 0x3e2d2c64
	v_fma_f64 v[4:5], v[0:1], v[6:7], -v[4:5]
	v_rndne_f64_e32 v[9:10], v[9:10]
	v_add_f64 v[4:5], v[4:5], s[0:1]
	s_mov_b32 s0, 0xfefa39ef
	s_mov_b32 s1, 0xbfe62e42
	v_fma_f64 v[11:12], v[9:10], s[0:1], |v[2:3]|
	s_mov_b32 s0, 0x80d6d56d
	s_mov_b32 s1, 0x3e585692
	v_fma_f64 v[6:7], v[0:1], v[4:5], -v[6:7]
	v_fma_f64 v[11:12], v[9:10], s[16:17], v[11:12]
	s_mov_b32 s16, 0xd9cd616e
	s_mov_b32 s17, 0x3e8b8007
	v_cvt_i32_f64_e32 v9, v[9:10]
	v_mov_b32_e32 v10, 0x7ff00000
	v_add_f64 v[6:7], v[6:7], s[0:1]
	s_mov_b32 s0, 0x6a5dcb37
	s_mov_b32 s1, 0x3e5ade15
	v_fma_f64 v[15:16], v[11:12], s[0:1], v[15:16]
	s_mov_b32 s0, 0
	s_brev_b32 s1, 8
	v_cmp_lt_f64_e64 vcc, |v[2:3]|, s[0:1]
	s_mov_b32 s0, 0x7c89e6b0
	v_fma_f64 v[4:5], v[0:1], v[6:7], -v[4:5]
	s_mov_b32 s1, 0x3efa0199
	v_fma_f64 v[15:16], v[11:12], v[15:16], s[18:19]
	v_cndmask_b32_e32 v13, 0, v13, vcc
	v_ldexp_f64 v[17:18], |v[2:3]|, v13
	v_add_f64 v[4:5], v[4:5], s[16:17]
	s_mov_b32 s16, 0x14761f6e
	s_mov_b32 s17, 0x3f2a01a0
	v_fma_f64 v[15:16], v[11:12], v[15:16], s[0:1]
	s_mov_b32 s0, 0xc101c586
	s_mov_b32 s1, 0x3ec8412b
	v_rsq_f64_e32 v[19:20], v[17:18]
	v_fma_f64 v[6:7], v[0:1], v[4:5], -v[6:7]
	v_fma_f64 v[15:16], v[11:12], v[15:16], s[16:17]
	s_mov_b32 s16, 0x11122322
	s_mov_b32 s17, 0x3f811111
	v_add_f64 v[6:7], v[6:7], s[0:1]
	s_mov_b32 s0, 0x1852b7b0
	s_mov_b32 s1, 0x3f56c16c
	v_fma_f64 v[15:16], v[11:12], v[15:16], s[0:1]
	s_mov_b32 s0, 0x78999e52
	s_mov_b32 s1, 0x3f120fa3
	v_mul_f64 v[21:22], v[17:18], v[19:20]
	v_fma_f64 v[4:5], v[0:1], v[6:7], -v[4:5]
	v_mul_f64 v[19:20], v[19:20], 0.5
	v_fma_f64 v[15:16], v[11:12], v[15:16], s[16:17]
	s_mov_b32 s16, 0x55555511
	s_mov_b32 s17, 0x3fc55555
	v_add_f64 v[4:5], v[4:5], s[0:1]
	s_mov_b32 s0, 0x555502a1
	s_mov_b32 s1, 0x3fa55555
	v_fma_f64 v[23:24], -v[19:20], v[21:22], 0.5
	v_fma_f64 v[15:16], v[11:12], v[15:16], s[0:1]
	s_mov_b32 s0, 0xa2e59049
	s_mov_b32 s1, 0x3f6b998c
	v_fma_f64 v[6:7], v[0:1], v[4:5], -v[6:7]
	v_fma_f64 v[21:22], v[21:22], v[23:24], v[21:22]
	v_fma_f64 v[15:16], v[11:12], v[15:16], s[16:17]
	;; [unrolled: 1-line block ×3, first 2 shown]
	v_add_f64 v[6:7], v[6:7], s[0:1]
	s_mov_b32 s0, 11
	s_mov_b32 s1, 0x3fe00000
	v_fma_f64 v[23:24], -v[21:22], v[21:22], v[17:18]
	v_fma_f64 v[15:16], v[11:12], v[15:16], s[0:1]
	s_mov_b32 s0, 0xaca809cb
	s_mov_b32 s1, 0x3fe9be62
	v_fma_f64 v[0:1], v[0:1], v[6:7], -v[4:5]
	v_fma_f64 v[6:7], v[23:24], v[19:20], v[21:22]
	v_fma_f64 v[15:16], v[11:12], v[15:16], 1.0
	v_add_f64 v[0:1], v[0:1], s[0:1]
	s_mov_b32 s0, 0
	s_mov_b32 s1, 0x40900000
	v_fma_f64 v[21:22], -v[6:7], v[6:7], v[17:18]
	v_fma_f64 v[11:12], v[11:12], v[15:16], 1.0
	v_cmp_ngt_f64_e64 s[0:1], |v[2:3]|, s[0:1]
	v_mov_b32_e32 v2, 0xffffff80
	v_cndmask_b32_e32 v2, 0, v2, vcc
	v_add_f64 v[0:1], v[0:1], -v[4:5]
	v_fma_f64 v[4:5], v[21:22], v[19:20], v[6:7]
	v_ldexp_f64 v[6:7], v[11:12], v9
	v_mov_b32_e32 v9, 0x260
	v_cmp_class_f64_e32 vcc, v[17:18], v9
	v_mul_f64 v[0:1], v[0:1], 0.5
	v_ldexp_f64 v[2:3], v[4:5], v2
	v_cndmask_b32_e64 v5, v10, v7, s[0:1]
	v_cndmask_b32_e64 v4, 0, v6, s[0:1]
	v_mul_f64 v[0:1], v[4:5], v[0:1]
	v_cndmask_b32_e32 v3, v3, v18, vcc
	v_cndmask_b32_e32 v2, v2, v17, vcc
	v_div_scale_f64 v[4:5], s[0:1], v[2:3], v[2:3], v[0:1]
	v_div_scale_f64 v[11:12], vcc, v[0:1], v[2:3], v[0:1]
	v_rcp_f64_e32 v[6:7], v[4:5]
	v_fma_f64 v[9:10], -v[4:5], v[6:7], 1.0
	v_fma_f64 v[6:7], v[6:7], v[9:10], v[6:7]
	v_fma_f64 v[9:10], -v[4:5], v[6:7], 1.0
	v_fma_f64 v[6:7], v[6:7], v[9:10], v[6:7]
	v_mul_f64 v[9:10], v[11:12], v[6:7]
	v_fma_f64 v[4:5], -v[4:5], v[9:10], v[11:12]
	v_div_fmas_f64 v[4:5], v[4:5], v[6:7], v[9:10]
	v_div_fixup_f64 v[0:1], v[4:5], v[2:3], v[0:1]
.LBB8_1172:
	s_or_b64 exec, exec, s[12:13]
	s_lshl_b32 s3, s3, 7
	v_add_u32_e32 v10, s3, v8
	v_ashrrev_i32_e32 v2, 31, v10
	v_mov_b32_e32 v3, s11
	v_add_co_u32_e32 v4, vcc, s10, v10
	s_cmp_lt_i32 s22, 11
	v_addc_co_u32_e32 v5, vcc, v3, v2, vcc
	s_cbranch_scc1 .LBB8_1179
; %bb.1173:
	s_cmp_gt_i32 s22, 25
	s_mov_b64 s[12:13], 0
	s_cbranch_scc0 .LBB8_1181
; %bb.1174:
	s_cmp_gt_i32 s22, 28
	s_cbranch_scc0 .LBB8_1182
; %bb.1175:
	s_cmp_gt_i32 s22, 43
	;; [unrolled: 3-line block ×3, first 2 shown]
	s_cbranch_scc0 .LBB8_1185
; %bb.1177:
	s_cmp_eq_u32 s22, 46
	s_mov_b64 s[18:19], 0
	s_cbranch_scc0 .LBB8_1188
; %bb.1178:
	global_load_dword v2, v[4:5], off
	s_mov_b64 s[0:1], 0
	s_mov_b64 s[16:17], -1
	s_waitcnt vmcnt(0)
	v_lshlrev_b32_e32 v2, 16, v2
	v_cvt_f64_f32_e32 v[2:3], v2
	s_branch .LBB8_1189
.LBB8_1179:
	s_mov_b64 s[16:17], 0
                                        ; implicit-def: $vgpr2_vgpr3
	s_cbranch_execnz .LBB8_1254
.LBB8_1180:
	s_andn2_b64 vcc, exec, s[16:17]
	s_cbranch_vccnz .LBB8_1650
	s_branch .LBB8_1301
.LBB8_1181:
	s_mov_b64 s[16:17], 0
	s_mov_b64 s[0:1], 0
                                        ; implicit-def: $vgpr2_vgpr3
	s_cbranch_execnz .LBB8_1220
	s_branch .LBB8_1250
.LBB8_1182:
	s_mov_b64 s[18:19], -1
	s_mov_b64 s[16:17], 0
	s_mov_b64 s[0:1], 0
                                        ; implicit-def: $vgpr2_vgpr3
	s_branch .LBB8_1199
.LBB8_1183:
	s_mov_b64 s[18:19], -1
	s_mov_b64 s[16:17], 0
	s_mov_b64 s[0:1], 0
                                        ; implicit-def: $vgpr2_vgpr3
	s_branch .LBB8_1194
.LBB8_1184:
	s_or_b64 s[14:15], s[6:7], exec
	s_trap 2
	s_cbranch_execz .LBB8_1121
	s_branch .LBB8_1122
.LBB8_1185:
	s_mov_b64 s[18:19], -1
	s_mov_b64 s[16:17], 0
	s_mov_b64 s[0:1], 0
                                        ; implicit-def: $vgpr2_vgpr3
	s_branch .LBB8_1189
.LBB8_1186:
	s_andn2_saveexec_b64 s[24:25], s[24:25]
	s_cbranch_execz .LBB8_968
.LBB8_1187:
	s_mov_b32 s28, 0x42800000
	v_add_f32_e64 v3, |v2|, s28
	v_and_b32_e32 v3, 0xff, v3
	v_cmp_ne_u32_e32 vcc, 0, v3
	s_andn2_b64 s[22:23], s[22:23], exec
	s_and_b64 s[28:29], vcc, exec
	s_or_b64 s[22:23], s[22:23], s[28:29]
	s_or_b64 exec, exec, s[24:25]
	v_mov_b32_e32 v6, 0
	s_and_saveexec_b64 s[24:25], s[22:23]
	s_cbranch_execnz .LBB8_969
	s_branch .LBB8_970
.LBB8_1188:
	s_mov_b64 s[0:1], -1
                                        ; implicit-def: $vgpr2_vgpr3
	s_mov_b64 s[16:17], 0
.LBB8_1189:
	s_and_b64 vcc, exec, s[18:19]
	s_cbranch_vccz .LBB8_1193
; %bb.1190:
	s_cmp_eq_u32 s22, 44
	s_cbranch_scc0 .LBB8_1192
; %bb.1191:
	global_load_ubyte v6, v[4:5], off
	s_movk_i32 s16, 0xff
	v_bfrev_b32_e32 v7, 4
	v_mov_b32_e32 v8, 0x7ff80000
	v_bfrev_b32_e32 v9, 28
	s_mov_b64 s[0:1], 0
	s_waitcnt vmcnt(0)
	v_lshlrev_b32_e32 v2, 23, v6
	v_cvt_f64_f32_e32 v[2:3], v2
	v_cmp_ne_u32_e32 vcc, s16, v6
	s_mov_b64 s[16:17], -1
	v_cndmask_b32_e32 v2, v7, v2, vcc
	v_cndmask_b32_e32 v3, v8, v3, vcc
	v_cmp_ne_u32_e32 vcc, 0, v6
	v_cndmask_b32_e32 v3, v9, v3, vcc
	v_cndmask_b32_e32 v2, 0, v2, vcc
	s_branch .LBB8_1193
.LBB8_1192:
	s_mov_b64 s[0:1], -1
                                        ; implicit-def: $vgpr2_vgpr3
.LBB8_1193:
	s_mov_b64 s[18:19], 0
.LBB8_1194:
	s_and_b64 vcc, exec, s[18:19]
	s_cbranch_vccz .LBB8_1198
; %bb.1195:
	s_cmp_eq_u32 s22, 29
	s_cbranch_scc0 .LBB8_1197
; %bb.1196:
	global_load_dwordx2 v[2:3], v[4:5], off
	s_mov_b64 s[0:1], 0
	s_mov_b64 s[16:17], -1
	s_mov_b64 s[18:19], 0
	s_waitcnt vmcnt(0)
	v_cvt_f64_u32_e32 v[6:7], v3
	v_cvt_f64_u32_e32 v[2:3], v2
	v_ldexp_f64 v[6:7], v[6:7], 32
	v_add_f64 v[2:3], v[6:7], v[2:3]
	s_branch .LBB8_1199
.LBB8_1197:
	s_mov_b64 s[0:1], -1
                                        ; implicit-def: $vgpr2_vgpr3
.LBB8_1198:
	s_mov_b64 s[18:19], 0
.LBB8_1199:
	s_and_b64 vcc, exec, s[18:19]
	s_cbranch_vccz .LBB8_1219
; %bb.1200:
	s_cmp_lt_i32 s22, 27
	s_cbranch_scc1 .LBB8_1203
; %bb.1201:
	s_cmp_gt_i32 s22, 27
	s_cbranch_scc0 .LBB8_1204
; %bb.1202:
	global_load_dword v2, v[4:5], off
	s_mov_b64 s[16:17], 0
	s_waitcnt vmcnt(0)
	v_cvt_f64_u32_e32 v[2:3], v2
	s_branch .LBB8_1205
.LBB8_1203:
	s_mov_b64 s[16:17], -1
                                        ; implicit-def: $vgpr2_vgpr3
	s_branch .LBB8_1208
.LBB8_1204:
	s_mov_b64 s[16:17], -1
                                        ; implicit-def: $vgpr2_vgpr3
.LBB8_1205:
	s_andn2_b64 vcc, exec, s[16:17]
	s_cbranch_vccnz .LBB8_1207
; %bb.1206:
	global_load_ushort v2, v[4:5], off
	s_waitcnt vmcnt(0)
	v_cvt_f64_u32_e32 v[2:3], v2
.LBB8_1207:
	s_mov_b64 s[16:17], 0
.LBB8_1208:
	s_andn2_b64 vcc, exec, s[16:17]
	s_cbranch_vccnz .LBB8_1218
; %bb.1209:
	global_load_ubyte v6, v[4:5], off
	s_movk_i32 s16, 0x7f
	s_waitcnt vmcnt(0)
	v_cmp_lt_i16_e32 vcc, s16, v6
	s_mov_b64 s[16:17], 0
	s_and_saveexec_b64 s[18:19], vcc
	s_xor_b64 s[18:19], exec, s[18:19]
	s_cbranch_execz .LBB8_1213
; %bb.1210:
	s_movk_i32 s16, 0x80
	v_cmp_eq_u16_e32 vcc, s16, v6
	s_mov_b64 s[16:17], -1
	s_and_saveexec_b64 s[20:21], vcc
; %bb.1211:
	s_xor_b64 s[16:17], exec, -1
; %bb.1212:
	s_or_b64 exec, exec, s[20:21]
	s_and_b64 s[16:17], s[16:17], exec
.LBB8_1213:
	s_or_saveexec_b64 s[18:19], s[18:19]
	v_bfrev_b32_e32 v2, 4
	v_mov_b32_e32 v3, 0x7ff80000
	s_xor_b64 exec, exec, s[18:19]
; %bb.1214:
	v_cmp_ne_u16_e32 vcc, 0, v6
	v_mov_b32_e32 v2, 0
	s_andn2_b64 s[16:17], s[16:17], exec
	s_and_b64 s[20:21], vcc, exec
	v_mov_b32_e32 v3, 0
	s_or_b64 s[16:17], s[16:17], s[20:21]
; %bb.1215:
	s_or_b64 exec, exec, s[18:19]
	s_and_saveexec_b64 s[18:19], s[16:17]
	s_cbranch_execz .LBB8_1217
; %bb.1216:
	v_and_b32_e32 v3, 0xffff, v6
	v_lshlrev_b32_e32 v2, 24, v6
	v_and_b32_e32 v6, 7, v3
	v_ffbh_u32_e32 v8, v6
	v_min_u32_e32 v8, 32, v8
	v_subrev_u32_e32 v9, 28, v8
	v_bfe_u32 v7, v3, 3, 4
	v_lshlrev_b32_e32 v3, v9, v3
	v_sub_u32_e32 v8, 29, v8
	v_and_b32_e32 v3, 7, v3
	v_cmp_eq_u32_e32 vcc, 0, v7
	v_cndmask_b32_e32 v7, v7, v8, vcc
	v_cndmask_b32_e32 v3, v6, v3, vcc
	v_mov_b32_e32 v6, 0x3b800000
	v_lshlrev_b32_e32 v3, 20, v3
	v_and_b32_e32 v2, 0x80000000, v2
	v_lshl_add_u32 v6, v7, 23, v6
	v_or3_b32 v2, v2, v6, v3
	v_cvt_f64_f32_e32 v[2:3], v2
.LBB8_1217:
	s_or_b64 exec, exec, s[18:19]
.LBB8_1218:
	s_mov_b64 s[16:17], -1
.LBB8_1219:
	s_branch .LBB8_1250
.LBB8_1220:
	s_cmp_gt_i32 s22, 22
	s_cbranch_scc0 .LBB8_1232
; %bb.1221:
	s_cmp_lt_i32 s22, 24
	s_cbranch_scc1 .LBB8_1233
; %bb.1222:
	s_cmp_gt_i32 s22, 24
	s_cbranch_scc0 .LBB8_1234
; %bb.1223:
	global_load_ubyte v6, v[4:5], off
	s_movk_i32 s12, 0x7f
	s_waitcnt vmcnt(0)
	v_cmp_lt_i16_e32 vcc, s12, v6
	s_mov_b64 s[12:13], 0
	s_and_saveexec_b64 s[16:17], vcc
	s_xor_b64 s[16:17], exec, s[16:17]
	s_cbranch_execz .LBB8_1227
; %bb.1224:
	s_movk_i32 s12, 0x80
	v_cmp_eq_u16_e32 vcc, s12, v6
	s_mov_b64 s[12:13], -1
	s_and_saveexec_b64 s[18:19], vcc
; %bb.1225:
	s_xor_b64 s[12:13], exec, -1
; %bb.1226:
	s_or_b64 exec, exec, s[18:19]
	s_and_b64 s[12:13], s[12:13], exec
.LBB8_1227:
	s_or_saveexec_b64 s[16:17], s[16:17]
	v_bfrev_b32_e32 v2, 4
	v_mov_b32_e32 v3, 0x7ff80000
	s_xor_b64 exec, exec, s[16:17]
; %bb.1228:
	v_cmp_ne_u16_e32 vcc, 0, v6
	v_mov_b32_e32 v2, 0
	s_andn2_b64 s[12:13], s[12:13], exec
	s_and_b64 s[18:19], vcc, exec
	v_mov_b32_e32 v3, 0
	s_or_b64 s[12:13], s[12:13], s[18:19]
; %bb.1229:
	s_or_b64 exec, exec, s[16:17]
	s_and_saveexec_b64 s[16:17], s[12:13]
	s_cbranch_execz .LBB8_1231
; %bb.1230:
	v_and_b32_e32 v3, 0xffff, v6
	v_lshlrev_b32_e32 v2, 24, v6
	v_and_b32_e32 v6, 3, v3
	v_ffbh_u32_e32 v8, v6
	v_min_u32_e32 v8, 32, v8
	v_subrev_u32_e32 v9, 29, v8
	v_bfe_u32 v7, v3, 2, 5
	v_lshlrev_b32_e32 v3, v9, v3
	v_sub_u32_e32 v8, 30, v8
	v_and_b32_e32 v3, 3, v3
	v_cmp_eq_u32_e32 vcc, 0, v7
	v_cndmask_b32_e32 v7, v7, v8, vcc
	v_cndmask_b32_e32 v3, v6, v3, vcc
	v_mov_b32_e32 v6, 0x37800000
	v_lshlrev_b32_e32 v3, 21, v3
	v_and_b32_e32 v2, 0x80000000, v2
	v_lshl_add_u32 v6, v7, 23, v6
	v_or3_b32 v2, v2, v6, v3
	v_cvt_f64_f32_e32 v[2:3], v2
.LBB8_1231:
	s_or_b64 exec, exec, s[16:17]
	s_mov_b64 s[12:13], 0
	s_branch .LBB8_1235
.LBB8_1232:
	s_mov_b64 s[12:13], -1
                                        ; implicit-def: $vgpr2_vgpr3
	s_branch .LBB8_1241
.LBB8_1233:
	s_mov_b64 s[12:13], -1
                                        ; implicit-def: $vgpr2_vgpr3
	s_branch .LBB8_1238
.LBB8_1234:
	s_mov_b64 s[12:13], -1
                                        ; implicit-def: $vgpr2_vgpr3
.LBB8_1235:
	s_and_b64 vcc, exec, s[12:13]
	s_cbranch_vccz .LBB8_1237
; %bb.1236:
	global_load_ubyte v2, v[4:5], off
	s_mov_b32 s12, 0x7f800000
	s_waitcnt vmcnt(0)
	v_lshlrev_b32_e32 v2, 24, v2
	v_and_b32_e32 v3, 0x7f000000, v2
	v_ffbh_u32_e32 v6, v3
	v_min_u32_e32 v6, 32, v6
	v_sub_u32_e64 v6, v6, 4 clamp
	v_lshlrev_b32_e32 v8, v6, v3
	v_lshlrev_b32_e32 v6, 23, v6
	v_lshrrev_b32_e32 v8, 4, v8
	v_add_u32_e32 v7, 0x1000000, v3
	v_sub_u32_e32 v6, v8, v6
	v_ashrrev_i32_e32 v7, 8, v7
	v_add_u32_e32 v6, 0x3c000000, v6
	v_and_or_b32 v6, v7, s12, v6
	v_cmp_ne_u32_e32 vcc, 0, v3
	v_cndmask_b32_e32 v3, 0, v6, vcc
	s_brev_b32 s12, 1
	v_and_or_b32 v2, v2, s12, v3
	v_cvt_f64_f32_e32 v[2:3], v2
.LBB8_1237:
	s_mov_b64 s[12:13], 0
.LBB8_1238:
	s_andn2_b64 vcc, exec, s[12:13]
	s_cbranch_vccnz .LBB8_1240
; %bb.1239:
	global_load_ubyte v2, v[4:5], off
	s_movk_i32 s12, 0x7f00
	s_brev_b32 s13, 16
	s_waitcnt vmcnt(0)
	v_lshlrev_b16_e32 v3, 8, v2
	v_lshlrev_b32_e32 v2, 25, v2
	v_lshrrev_b32_e32 v6, 4, v2
	v_and_or_b32 v7, v3, s12, 0.5
	v_or_b32_e32 v6, 0x70000000, v6
	v_add_f32_e32 v7, -0.5, v7
	v_mul_f32_e32 v6, 0x7800000, v6
	v_cmp_gt_u32_e32 vcc, s13, v2
	v_bfe_i32 v3, v3, 0, 16
	v_cndmask_b32_e32 v2, v6, v7, vcc
	s_brev_b32 s12, 1
	v_and_or_b32 v2, v3, s12, v2
	v_cvt_f64_f32_e32 v[2:3], v2
.LBB8_1240:
	s_mov_b64 s[12:13], 0
	s_mov_b64 s[16:17], -1
.LBB8_1241:
	s_andn2_b64 vcc, exec, s[12:13]
	s_mov_b64 s[12:13], 0
	s_cbranch_vccnz .LBB8_1250
; %bb.1242:
	s_cmp_gt_i32 s22, 14
	s_cbranch_scc0 .LBB8_1245
; %bb.1243:
	s_cmp_eq_u32 s22, 15
	s_cbranch_scc0 .LBB8_1246
; %bb.1244:
	global_load_ushort v2, v[4:5], off
	s_mov_b64 s[0:1], 0
	s_mov_b64 s[16:17], -1
	s_waitcnt vmcnt(0)
	v_lshlrev_b32_e32 v2, 16, v2
	v_cvt_f64_f32_e32 v[2:3], v2
	s_branch .LBB8_1247
.LBB8_1245:
	s_mov_b64 s[18:19], -1
                                        ; implicit-def: $vgpr2_vgpr3
	s_branch .LBB8_1248
.LBB8_1246:
	s_mov_b64 s[0:1], -1
                                        ; implicit-def: $vgpr2_vgpr3
.LBB8_1247:
	s_mov_b64 s[18:19], 0
.LBB8_1248:
	s_and_b64 vcc, exec, s[18:19]
	s_cbranch_vccz .LBB8_1250
; %bb.1249:
	s_cmp_lg_u32 s22, 11
	s_mov_b64 s[12:13], -1
	s_cselect_b64 s[0:1], -1, 0
.LBB8_1250:
	s_and_b64 vcc, exec, s[0:1]
	s_cbranch_vccnz .LBB8_1317
; %bb.1251:
	s_andn2_b64 vcc, exec, s[12:13]
	s_cbranch_vccnz .LBB8_1253
.LBB8_1252:
	global_load_ubyte v3, v[4:5], off
	v_mov_b32_e32 v6, 0x3ff00000
	v_mov_b32_e32 v2, 0
	s_mov_b64 s[16:17], -1
	s_waitcnt vmcnt(0)
	v_cmp_ne_u16_e32 vcc, 0, v3
	v_cndmask_b32_e32 v3, 0, v6, vcc
.LBB8_1253:
	s_branch .LBB8_1180
.LBB8_1254:
	s_cmp_lt_i32 s22, 5
	s_cbranch_scc1 .LBB8_1259
; %bb.1255:
	s_cmp_lt_i32 s22, 8
	s_cbranch_scc1 .LBB8_1260
; %bb.1256:
	;; [unrolled: 3-line block ×3, first 2 shown]
	s_cmp_gt_i32 s22, 9
	s_cbranch_scc0 .LBB8_1262
; %bb.1258:
	global_load_dwordx2 v[2:3], v[4:5], off
	s_mov_b64 s[0:1], 0
	s_branch .LBB8_1263
.LBB8_1259:
                                        ; implicit-def: $vgpr2_vgpr3
	s_branch .LBB8_1281
.LBB8_1260:
	s_mov_b64 s[0:1], -1
                                        ; implicit-def: $vgpr2_vgpr3
	s_branch .LBB8_1269
.LBB8_1261:
	s_mov_b64 s[0:1], -1
                                        ; implicit-def: $vgpr2_vgpr3
	s_branch .LBB8_1266
.LBB8_1262:
	s_mov_b64 s[0:1], -1
                                        ; implicit-def: $vgpr2_vgpr3
.LBB8_1263:
	s_andn2_b64 vcc, exec, s[0:1]
	s_cbranch_vccnz .LBB8_1265
; %bb.1264:
	global_load_dword v2, v[4:5], off
	s_waitcnt vmcnt(0)
	v_cvt_f64_f32_e32 v[2:3], v2
.LBB8_1265:
	s_mov_b64 s[0:1], 0
.LBB8_1266:
	s_andn2_b64 vcc, exec, s[0:1]
	s_cbranch_vccnz .LBB8_1268
; %bb.1267:
	global_load_dword v2, v[4:5], off
	s_waitcnt vmcnt(0)
	v_cvt_f32_f16_e32 v2, v2
	v_cvt_f64_f32_e32 v[2:3], v2
.LBB8_1268:
	s_mov_b64 s[0:1], 0
.LBB8_1269:
	s_andn2_b64 vcc, exec, s[0:1]
	s_cbranch_vccnz .LBB8_1280
; %bb.1270:
	s_cmp_lt_i32 s22, 6
	s_cbranch_scc1 .LBB8_1273
; %bb.1271:
	s_cmp_gt_i32 s22, 6
	s_cbranch_scc0 .LBB8_1274
; %bb.1272:
	global_load_dwordx2 v[2:3], v[4:5], off
	s_mov_b64 s[0:1], 0
	s_branch .LBB8_1275
.LBB8_1273:
	s_mov_b64 s[0:1], -1
                                        ; implicit-def: $vgpr2_vgpr3
	s_branch .LBB8_1278
.LBB8_1274:
	s_mov_b64 s[0:1], -1
                                        ; implicit-def: $vgpr2_vgpr3
.LBB8_1275:
	s_andn2_b64 vcc, exec, s[0:1]
	s_cbranch_vccnz .LBB8_1277
; %bb.1276:
	global_load_dword v2, v[4:5], off
	s_waitcnt vmcnt(0)
	v_cvt_f64_f32_e32 v[2:3], v2
.LBB8_1277:
	s_mov_b64 s[0:1], 0
.LBB8_1278:
	s_andn2_b64 vcc, exec, s[0:1]
	s_cbranch_vccnz .LBB8_1280
; %bb.1279:
	global_load_ushort v2, v[4:5], off
	s_waitcnt vmcnt(0)
	v_cvt_f32_f16_e32 v2, v2
	v_cvt_f64_f32_e32 v[2:3], v2
.LBB8_1280:
	s_cbranch_execnz .LBB8_1300
.LBB8_1281:
	s_cmp_lt_i32 s22, 2
	s_cbranch_scc1 .LBB8_1285
; %bb.1282:
	s_cmp_lt_i32 s22, 3
	s_cbranch_scc1 .LBB8_1286
; %bb.1283:
	s_cmp_gt_i32 s22, 3
	s_cbranch_scc0 .LBB8_1287
; %bb.1284:
	global_load_dwordx2 v[2:3], v[4:5], off
	s_mov_b64 s[0:1], 0
	s_waitcnt vmcnt(0)
	v_cvt_f64_i32_e32 v[6:7], v3
	v_cvt_f64_u32_e32 v[2:3], v2
	v_ldexp_f64 v[6:7], v[6:7], 32
	v_add_f64 v[2:3], v[6:7], v[2:3]
	s_branch .LBB8_1288
.LBB8_1285:
	s_mov_b64 s[0:1], -1
                                        ; implicit-def: $vgpr2_vgpr3
	s_branch .LBB8_1294
.LBB8_1286:
	s_mov_b64 s[0:1], -1
                                        ; implicit-def: $vgpr2_vgpr3
	s_branch .LBB8_1291
.LBB8_1287:
	s_mov_b64 s[0:1], -1
                                        ; implicit-def: $vgpr2_vgpr3
.LBB8_1288:
	s_andn2_b64 vcc, exec, s[0:1]
	s_cbranch_vccnz .LBB8_1290
; %bb.1289:
	global_load_dword v2, v[4:5], off
	s_waitcnt vmcnt(0)
	v_cvt_f64_i32_e32 v[2:3], v2
.LBB8_1290:
	s_mov_b64 s[0:1], 0
.LBB8_1291:
	s_andn2_b64 vcc, exec, s[0:1]
	s_cbranch_vccnz .LBB8_1293
; %bb.1292:
	global_load_sshort v2, v[4:5], off
	s_waitcnt vmcnt(0)
	v_cvt_f64_i32_e32 v[2:3], v2
.LBB8_1293:
	s_mov_b64 s[0:1], 0
.LBB8_1294:
	s_andn2_b64 vcc, exec, s[0:1]
	s_cbranch_vccnz .LBB8_1300
; %bb.1295:
	s_cmp_gt_i32 s22, 0
	s_cbranch_scc0 .LBB8_1297
; %bb.1296:
	global_load_sbyte v2, v[4:5], off
	s_mov_b64 s[0:1], 0
	s_waitcnt vmcnt(0)
	v_cvt_f64_i32_e32 v[2:3], v2
	s_branch .LBB8_1298
.LBB8_1297:
	s_mov_b64 s[0:1], -1
                                        ; implicit-def: $vgpr2_vgpr3
.LBB8_1298:
	s_andn2_b64 vcc, exec, s[0:1]
	s_cbranch_vccnz .LBB8_1300
; %bb.1299:
	global_load_ubyte v2, v[4:5], off
	s_waitcnt vmcnt(0)
	v_cvt_f64_u32_e32 v[2:3], v2
.LBB8_1300:
.LBB8_1301:
	s_mov_b32 s0, 0
	s_mov_b32 s1, 0x40200000
	s_waitcnt vmcnt(0)
	v_cmp_le_f64_e64 s[0:1], |v[2:3]|, s[0:1]
                                        ; implicit-def: $vgpr4_vgpr5
	s_and_saveexec_b64 s[12:13], s[0:1]
	s_xor_b64 s[0:1], exec, s[12:13]
	s_cbranch_execz .LBB8_1303
; %bb.1302:
	v_fma_f64 v[4:5], |v[2:3]|, 0.5, -2.0
	v_mov_b32_e32 v6, 0x977da589
	v_mov_b32_e32 v7, 0x3c833362
	s_mov_b32 s13, 0xbc545cb7
	s_mov_b32 s12, 0x2134d0ef
	;; [unrolled: 1-line block ×4, first 2 shown]
	v_mov_b32_e32 v15, 0xfca7ab0c
	v_fma_f64 v[6:7], v[4:5], s[12:13], v[6:7]
	s_mov_b32 s13, 0x3c545cb7
	v_mov_b32_e32 v16, 0x3e928af3
	v_fma_f64 v[8:9], v[4:5], v[6:7], s[12:13]
	s_mov_b32 s12, 0x721ebbb4
	s_mov_b32 s13, 0xbcb184eb
	v_add_f64 v[8:9], v[8:9], s[12:13]
	s_mov_b32 s12, 0x93f65eba
	s_mov_b32 s13, 0x3cdee6d8
	v_fma_f64 v[6:7], v[4:5], v[8:9], -v[6:7]
	v_add_f64 v[6:7], v[6:7], s[12:13]
	s_mov_b32 s12, 0xc297fbeb
	s_mov_b32 s13, 0xbd0a5022
	v_fma_f64 v[8:9], v[4:5], v[6:7], -v[8:9]
	;; [unrolled: 4-line block ×20, first 2 shown]
	v_add_f64 v[8:9], v[8:9], s[12:13]
	s_mov_b32 s12, 0x652b82fe
	s_mov_b32 s13, 0x3ff71547
	v_mul_f64 v[11:12], |v[2:3]|, s[12:13]
	s_mov_b32 s12, 0xf3dde3dd
	s_mov_b32 s13, 0x3f859961
	v_fma_f64 v[6:7], v[4:5], v[8:9], -v[6:7]
	v_rndne_f64_e32 v[11:12], v[11:12]
	v_add_f64 v[6:7], v[6:7], s[12:13]
	s_mov_b32 s12, 0xfefa39ef
	s_mov_b32 s13, 0xbfe62e42
	v_fma_f64 v[2:3], v[11:12], s[12:13], |v[2:3]|
	s_mov_b32 s12, 0xf121b6f0
	s_mov_b32 s13, 0xbf984e9e
	v_fma_f64 v[8:9], v[4:5], v[6:7], -v[8:9]
	v_fma_f64 v[2:3], v[11:12], s[16:17], v[2:3]
	s_mov_b32 s16, 0x623fde64
	s_mov_b32 s17, 0x3ec71dee
	v_add_f64 v[8:9], v[8:9], s[12:13]
	s_mov_b32 s12, 0x6a5dcb37
	s_mov_b32 s13, 0x3e5ade15
	v_fma_f64 v[15:16], v[2:3], s[12:13], v[15:16]
	s_mov_b32 s12, 0xcea8a32d
	s_mov_b32 s13, 0x3fa93e8a
	v_fma_f64 v[6:7], v[4:5], v[8:9], -v[6:7]
	v_fma_f64 v[15:16], v[2:3], v[15:16], s[16:17]
	s_mov_b32 s16, 0x14761f6e
	s_mov_b32 s17, 0x3f2a01a0
	v_add_f64 v[6:7], v[6:7], s[12:13]
	s_mov_b32 s12, 0x7c89e6b0
	s_mov_b32 s13, 0x3efa0199
	v_fma_f64 v[15:16], v[2:3], v[15:16], s[12:13]
	;; [unrolled: 10-line block ×4, first 2 shown]
	s_mov_b32 s12, 0xc057cd8d
	s_mov_b32 s13, 0xbfd37feb
	v_fma_f64 v[8:9], v[4:5], v[6:7], -v[8:9]
	v_fma_f64 v[15:16], v[2:3], v[15:16], s[16:17]
	v_add_f64 v[8:9], v[8:9], s[12:13]
	s_mov_b32 s12, 11
	s_mov_b32 s13, 0x3fe00000
	v_fma_f64 v[15:16], v[2:3], v[15:16], s[12:13]
	s_mov_b32 s12, 0x9035a22a
	s_mov_b32 s13, 0x3fe5a84e
	v_fma_f64 v[4:5], v[4:5], v[8:9], -v[6:7]
	v_fma_f64 v[8:9], v[2:3], v[15:16], 1.0
	v_add_f64 v[4:5], v[4:5], s[12:13]
	v_fma_f64 v[2:3], v[2:3], v[8:9], 1.0
	v_add_f64 v[4:5], v[4:5], -v[6:7]
	v_cvt_i32_f64_e32 v6, v[11:12]
	v_ldexp_f64 v[2:3], v[2:3], v6
	v_mul_f64 v[4:5], v[4:5], 0.5
	v_mul_f64 v[4:5], v[2:3], v[4:5]
                                        ; implicit-def: $vgpr2_vgpr3
.LBB8_1303:
	s_andn2_saveexec_b64 s[12:13], s[0:1]
	s_cbranch_execz .LBB8_1305
; %bb.1304:
	s_mov_b32 s0, 0
	v_and_b32_e32 v5, 0x7fffffff, v3
	v_mov_b32_e32 v4, v2
	s_mov_b32 s1, 0x40400000
	v_div_scale_f64 v[6:7], s[16:17], v[4:5], v[4:5], s[0:1]
	v_div_scale_f64 v[4:5], vcc, s[0:1], v[4:5], s[0:1]
	s_mov_b32 s16, 0x3b39803f
	s_mov_b32 s17, 0xbc7abc9e
	v_mov_b32_e32 v17, 0xfca7ab0c
	v_mov_b32_e32 v18, 0x3e928af3
	s_mov_b32 s18, 0x623fde64
	s_mov_b32 s19, 0x3ec71dee
	v_mov_b32_e32 v13, 0x100
	v_rcp_f64_e32 v[8:9], v[6:7]
	v_fma_f64 v[11:12], -v[6:7], v[8:9], 1.0
	v_fma_f64 v[8:9], v[8:9], v[11:12], v[8:9]
	v_fma_f64 v[11:12], -v[6:7], v[8:9], 1.0
	v_fma_f64 v[8:9], v[8:9], v[11:12], v[8:9]
	v_mul_f64 v[11:12], v[4:5], v[8:9]
	v_fma_f64 v[4:5], -v[6:7], v[11:12], v[4:5]
	v_mov_b32_e32 v6, 0x66119130
	v_mov_b32_e32 v7, 0xbc5646da
	v_div_fmas_f64 v[4:5], v[4:5], v[8:9], v[11:12]
	v_div_fixup_f64 v[4:5], v[4:5], |v[2:3]|, s[0:1]
	s_mov_b32 s1, 0xbc60adb7
	s_mov_b32 s0, 0x54ca8b19
	v_add_f64 v[4:5], v[4:5], -2.0
	v_fma_f64 v[6:7], v[4:5], s[0:1], v[6:7]
	s_mov_b32 s1, 0x3c60adb7
	v_fma_f64 v[8:9], v[4:5], v[6:7], s[0:1]
	s_mov_b32 s0, 0x12d98421
	s_mov_b32 s1, 0x3c89be18
	v_add_f64 v[8:9], v[8:9], s[0:1]
	s_mov_b32 s0, 0x76041cd
	s_mov_b32 s1, 0x3c83f3dd
	v_fma_f64 v[6:7], v[4:5], v[8:9], -v[6:7]
	v_add_f64 v[6:7], v[6:7], s[0:1]
	s_mov_b32 s0, 0xabd21fe4
	s_mov_b32 s1, 0xbcb4600b
	v_fma_f64 v[8:9], v[4:5], v[6:7], -v[8:9]
	v_add_f64 v[8:9], v[8:9], s[0:1]
	s_mov_b32 s0, 0xd908de38
	s_mov_b32 s1, 0xbcb8aee7
	v_fma_f64 v[6:7], v[4:5], v[8:9], -v[6:7]
	v_add_f64 v[6:7], v[6:7], s[0:1]
	s_mov_b32 s0, 0xa3eafb1f
	s_mov_b32 s1, 0x3cdfee7d
	v_fma_f64 v[8:9], v[4:5], v[6:7], -v[8:9]
	v_add_f64 v[8:9], v[8:9], s[0:1]
	s_mov_b32 s0, 0x9094e6d7
	s_mov_b32 s1, 0x3cf12a91
	v_fma_f64 v[6:7], v[4:5], v[8:9], -v[6:7]
	v_add_f64 v[6:7], v[6:7], s[0:1]
	s_mov_b32 s0, 0x7e65629a
	s_mov_b32 s1, 0xbd0583fe
	v_fma_f64 v[8:9], v[4:5], v[6:7], -v[8:9]
	v_add_f64 v[8:9], v[8:9], s[0:1]
	s_mov_b32 s0, 0xcf68bb32
	s_mov_b32 s1, 0xbd275d99
	v_fma_f64 v[6:7], v[4:5], v[8:9], -v[6:7]
	v_add_f64 v[6:7], v[6:7], s[0:1]
	s_mov_b32 s0, 0xd5fc545
	s_mov_b32 s1, 0x3d1156ff
	v_fma_f64 v[8:9], v[4:5], v[6:7], -v[8:9]
	v_add_f64 v[8:9], v[8:9], s[0:1]
	s_mov_b32 s0, 0x6b83c073
	s_mov_b32 s1, 0x3d5b1c8c
	v_fma_f64 v[6:7], v[4:5], v[8:9], -v[6:7]
	v_add_f64 v[6:7], v[6:7], s[0:1]
	s_mov_b32 s0, 0xfa268cec
	s_mov_b32 s1, 0x3d694347
	v_fma_f64 v[8:9], v[4:5], v[6:7], -v[8:9]
	v_add_f64 v[8:9], v[8:9], s[0:1]
	s_mov_b32 s0, 0x3178d66
	s_mov_b32 s1, 0xbd7f9043
	v_fma_f64 v[6:7], v[4:5], v[8:9], -v[6:7]
	v_add_f64 v[6:7], v[6:7], s[0:1]
	s_mov_b32 s0, 0x357e7bf2
	s_mov_b32 s1, 0xbdad0fd7
	v_fma_f64 v[8:9], v[4:5], v[6:7], -v[8:9]
	v_add_f64 v[11:12], v[8:9], s[0:1]
	s_mov_b32 s0, 0x8397425
	s_mov_b32 s1, 0xbdc1511d
	v_fma_f64 v[6:7], v[4:5], v[11:12], -v[6:7]
	v_add_f64 v[8:9], v[6:7], s[0:1]
	s_mov_b32 s0, 0xabe8004f
	s_mov_b32 s1, 0x3daa24fe
	v_fma_f64 v[6:7], v[4:5], v[8:9], -v[11:12]
	v_add_f64 v[6:7], v[6:7], s[0:1]
	s_mov_b32 s0, 0xc0f46f75
	s_mov_b32 s1, 0x3e00f9cc
	v_fma_f64 v[8:9], v[4:5], v[6:7], -v[8:9]
	v_add_f64 v[8:9], v[8:9], s[0:1]
	s_mov_b32 s0, 0x652b82fe
	s_mov_b32 s1, 0x3ff71547
	v_mul_f64 v[11:12], |v[2:3]|, s[0:1]
	s_mov_b32 s0, 0xa9225b87
	s_mov_b32 s1, 0x3e2d2c64
	v_fma_f64 v[6:7], v[4:5], v[8:9], -v[6:7]
	v_rndne_f64_e32 v[11:12], v[11:12]
	v_add_f64 v[6:7], v[6:7], s[0:1]
	s_mov_b32 s0, 0xfefa39ef
	s_mov_b32 s1, 0xbfe62e42
	v_fma_f64 v[15:16], v[11:12], s[0:1], |v[2:3]|
	s_mov_b32 s0, 0x80d6d56d
	s_mov_b32 s1, 0x3e585692
	v_fma_f64 v[8:9], v[4:5], v[6:7], -v[8:9]
	v_fma_f64 v[15:16], v[11:12], s[16:17], v[15:16]
	s_mov_b32 s16, 0xd9cd616e
	s_mov_b32 s17, 0x3e8b8007
	v_cvt_i32_f64_e32 v11, v[11:12]
	v_mov_b32_e32 v12, 0x7ff00000
	v_add_f64 v[8:9], v[8:9], s[0:1]
	s_mov_b32 s0, 0x6a5dcb37
	s_mov_b32 s1, 0x3e5ade15
	v_fma_f64 v[17:18], v[15:16], s[0:1], v[17:18]
	s_mov_b32 s0, 0
	s_brev_b32 s1, 8
	v_cmp_lt_f64_e64 vcc, |v[2:3]|, s[0:1]
	s_mov_b32 s0, 0x7c89e6b0
	v_fma_f64 v[6:7], v[4:5], v[8:9], -v[6:7]
	s_mov_b32 s1, 0x3efa0199
	v_fma_f64 v[17:18], v[15:16], v[17:18], s[18:19]
	v_cndmask_b32_e32 v13, 0, v13, vcc
	v_ldexp_f64 v[19:20], |v[2:3]|, v13
	v_add_f64 v[6:7], v[6:7], s[16:17]
	s_mov_b32 s16, 0x14761f6e
	s_mov_b32 s17, 0x3f2a01a0
	v_fma_f64 v[17:18], v[15:16], v[17:18], s[0:1]
	s_mov_b32 s0, 0xc101c586
	s_mov_b32 s1, 0x3ec8412b
	v_rsq_f64_e32 v[21:22], v[19:20]
	v_fma_f64 v[8:9], v[4:5], v[6:7], -v[8:9]
	v_fma_f64 v[17:18], v[15:16], v[17:18], s[16:17]
	s_mov_b32 s16, 0x11122322
	s_mov_b32 s17, 0x3f811111
	v_add_f64 v[8:9], v[8:9], s[0:1]
	s_mov_b32 s0, 0x1852b7b0
	s_mov_b32 s1, 0x3f56c16c
	v_fma_f64 v[17:18], v[15:16], v[17:18], s[0:1]
	s_mov_b32 s0, 0x78999e52
	s_mov_b32 s1, 0x3f120fa3
	v_mul_f64 v[23:24], v[19:20], v[21:22]
	v_fma_f64 v[6:7], v[4:5], v[8:9], -v[6:7]
	v_mul_f64 v[21:22], v[21:22], 0.5
	v_fma_f64 v[17:18], v[15:16], v[17:18], s[16:17]
	s_mov_b32 s16, 0x55555511
	s_mov_b32 s17, 0x3fc55555
	v_add_f64 v[6:7], v[6:7], s[0:1]
	s_mov_b32 s0, 0x555502a1
	s_mov_b32 s1, 0x3fa55555
	v_fma_f64 v[25:26], -v[21:22], v[23:24], 0.5
	v_fma_f64 v[17:18], v[15:16], v[17:18], s[0:1]
	s_mov_b32 s0, 0xa2e59049
	s_mov_b32 s1, 0x3f6b998c
	v_fma_f64 v[8:9], v[4:5], v[6:7], -v[8:9]
	v_fma_f64 v[23:24], v[23:24], v[25:26], v[23:24]
	v_fma_f64 v[17:18], v[15:16], v[17:18], s[16:17]
	;; [unrolled: 1-line block ×3, first 2 shown]
	v_add_f64 v[8:9], v[8:9], s[0:1]
	s_mov_b32 s0, 11
	s_mov_b32 s1, 0x3fe00000
	v_fma_f64 v[25:26], -v[23:24], v[23:24], v[19:20]
	v_fma_f64 v[17:18], v[15:16], v[17:18], s[0:1]
	s_mov_b32 s0, 0xaca809cb
	s_mov_b32 s1, 0x3fe9be62
	v_fma_f64 v[4:5], v[4:5], v[8:9], -v[6:7]
	v_fma_f64 v[8:9], v[25:26], v[21:22], v[23:24]
	v_fma_f64 v[17:18], v[15:16], v[17:18], 1.0
	v_add_f64 v[4:5], v[4:5], s[0:1]
	s_mov_b32 s0, 0
	s_mov_b32 s1, 0x40900000
	v_fma_f64 v[23:24], -v[8:9], v[8:9], v[19:20]
	v_fma_f64 v[15:16], v[15:16], v[17:18], 1.0
	v_cmp_ngt_f64_e64 s[0:1], |v[2:3]|, s[0:1]
	v_add_f64 v[4:5], v[4:5], -v[6:7]
	v_fma_f64 v[6:7], v[23:24], v[21:22], v[8:9]
	v_ldexp_f64 v[8:9], v[15:16], v11
	v_mov_b32_e32 v11, 0x260
	v_mul_f64 v[2:3], v[4:5], 0.5
	v_mov_b32_e32 v4, 0xffffff80
	v_cndmask_b32_e32 v4, 0, v4, vcc
	v_ldexp_f64 v[4:5], v[6:7], v4
	v_cmp_class_f64_e32 vcc, v[19:20], v11
	v_cndmask_b32_e64 v7, v12, v9, s[0:1]
	v_cndmask_b32_e64 v6, 0, v8, s[0:1]
	v_mul_f64 v[2:3], v[6:7], v[2:3]
	v_cndmask_b32_e32 v5, v5, v20, vcc
	v_cndmask_b32_e32 v4, v4, v19, vcc
	v_div_scale_f64 v[6:7], s[0:1], v[4:5], v[4:5], v[2:3]
	v_div_scale_f64 v[15:16], vcc, v[2:3], v[4:5], v[2:3]
	v_rcp_f64_e32 v[8:9], v[6:7]
	v_fma_f64 v[11:12], -v[6:7], v[8:9], 1.0
	v_fma_f64 v[8:9], v[8:9], v[11:12], v[8:9]
	v_fma_f64 v[11:12], -v[6:7], v[8:9], 1.0
	v_fma_f64 v[8:9], v[8:9], v[11:12], v[8:9]
	v_mul_f64 v[11:12], v[15:16], v[8:9]
	v_fma_f64 v[6:7], -v[6:7], v[11:12], v[15:16]
	v_div_fmas_f64 v[6:7], v[6:7], v[8:9], v[11:12]
	v_div_fixup_f64 v[4:5], v[6:7], v[4:5], v[2:3]
.LBB8_1305:
	s_or_b64 exec, exec, s[12:13]
	v_add_u32_e32 v12, s3, v10
	v_ashrrev_i32_e32 v2, 31, v12
	v_mov_b32_e32 v3, s11
	v_add_co_u32_e32 v6, vcc, s10, v12
	s_cmp_lt_i32 s22, 11
	v_addc_co_u32_e32 v7, vcc, v3, v2, vcc
	s_cbranch_scc1 .LBB8_1312
; %bb.1306:
	s_cmp_gt_i32 s22, 25
	s_mov_b64 s[12:13], 0
	s_cbranch_scc0 .LBB8_1314
; %bb.1307:
	s_cmp_gt_i32 s22, 28
	s_cbranch_scc0 .LBB8_1315
; %bb.1308:
	s_cmp_gt_i32 s22, 43
	;; [unrolled: 3-line block ×3, first 2 shown]
	s_cbranch_scc0 .LBB8_1318
; %bb.1310:
	s_cmp_eq_u32 s22, 46
	s_mov_b64 s[18:19], 0
	s_cbranch_scc0 .LBB8_1319
; %bb.1311:
	global_load_dword v2, v[6:7], off
	s_mov_b64 s[0:1], 0
	s_mov_b64 s[16:17], -1
	s_waitcnt vmcnt(0)
	v_lshlrev_b32_e32 v2, 16, v2
	v_cvt_f64_f32_e32 v[2:3], v2
	s_branch .LBB8_1320
.LBB8_1312:
	s_mov_b64 s[16:17], 0
                                        ; implicit-def: $vgpr2_vgpr3
	s_cbranch_execnz .LBB8_1386
.LBB8_1313:
	s_andn2_b64 vcc, exec, s[16:17]
	s_cbranch_vccnz .LBB8_1650
	s_branch .LBB8_1434
.LBB8_1314:
	s_mov_b64 s[18:19], -1
	s_mov_b64 s[16:17], 0
	s_mov_b64 s[0:1], 0
                                        ; implicit-def: $vgpr2_vgpr3
	s_branch .LBB8_1351
.LBB8_1315:
	s_mov_b64 s[18:19], -1
	s_mov_b64 s[16:17], 0
	s_mov_b64 s[0:1], 0
                                        ; implicit-def: $vgpr2_vgpr3
	s_branch .LBB8_1330
.LBB8_1316:
	s_mov_b64 s[18:19], -1
	s_mov_b64 s[16:17], 0
	s_mov_b64 s[0:1], 0
                                        ; implicit-def: $vgpr2_vgpr3
	s_branch .LBB8_1325
.LBB8_1317:
	s_trap 2
	s_or_b64 s[14:15], s[14:15], exec
	s_cbranch_execz .LBB8_1252
	s_branch .LBB8_1253
.LBB8_1318:
	s_mov_b64 s[18:19], -1
	s_mov_b64 s[16:17], 0
	s_mov_b64 s[0:1], 0
                                        ; implicit-def: $vgpr2_vgpr3
	s_branch .LBB8_1320
.LBB8_1319:
	s_mov_b64 s[0:1], -1
                                        ; implicit-def: $vgpr2_vgpr3
	s_mov_b64 s[16:17], 0
.LBB8_1320:
	s_and_b64 vcc, exec, s[18:19]
	s_cbranch_vccz .LBB8_1324
; %bb.1321:
	s_cmp_eq_u32 s22, 44
	s_cbranch_scc0 .LBB8_1323
; %bb.1322:
	global_load_ubyte v8, v[6:7], off
	s_movk_i32 s16, 0xff
	v_bfrev_b32_e32 v9, 4
	v_mov_b32_e32 v10, 0x7ff80000
	v_bfrev_b32_e32 v11, 28
	s_mov_b64 s[0:1], 0
	s_waitcnt vmcnt(0)
	v_lshlrev_b32_e32 v2, 23, v8
	v_cvt_f64_f32_e32 v[2:3], v2
	v_cmp_ne_u32_e32 vcc, s16, v8
	s_mov_b64 s[16:17], -1
	v_cndmask_b32_e32 v2, v9, v2, vcc
	v_cndmask_b32_e32 v3, v10, v3, vcc
	v_cmp_ne_u32_e32 vcc, 0, v8
	v_cndmask_b32_e32 v3, v11, v3, vcc
	v_cndmask_b32_e32 v2, 0, v2, vcc
	s_branch .LBB8_1324
.LBB8_1323:
	s_mov_b64 s[0:1], -1
                                        ; implicit-def: $vgpr2_vgpr3
.LBB8_1324:
	s_mov_b64 s[18:19], 0
.LBB8_1325:
	s_and_b64 vcc, exec, s[18:19]
	s_cbranch_vccz .LBB8_1329
; %bb.1326:
	s_cmp_eq_u32 s22, 29
	s_cbranch_scc0 .LBB8_1328
; %bb.1327:
	global_load_dwordx2 v[2:3], v[6:7], off
	s_mov_b64 s[0:1], 0
	s_mov_b64 s[16:17], -1
	s_mov_b64 s[18:19], 0
	s_waitcnt vmcnt(0)
	v_cvt_f64_u32_e32 v[8:9], v3
	v_cvt_f64_u32_e32 v[2:3], v2
	v_ldexp_f64 v[8:9], v[8:9], 32
	v_add_f64 v[2:3], v[8:9], v[2:3]
	s_branch .LBB8_1330
.LBB8_1328:
	s_mov_b64 s[0:1], -1
                                        ; implicit-def: $vgpr2_vgpr3
.LBB8_1329:
	s_mov_b64 s[18:19], 0
.LBB8_1330:
	s_and_b64 vcc, exec, s[18:19]
	s_cbranch_vccz .LBB8_1350
; %bb.1331:
	s_cmp_lt_i32 s22, 27
	s_cbranch_scc1 .LBB8_1334
; %bb.1332:
	s_cmp_gt_i32 s22, 27
	s_cbranch_scc0 .LBB8_1335
; %bb.1333:
	global_load_dword v2, v[6:7], off
	s_mov_b64 s[16:17], 0
	s_waitcnt vmcnt(0)
	v_cvt_f64_u32_e32 v[2:3], v2
	s_branch .LBB8_1336
.LBB8_1334:
	s_mov_b64 s[16:17], -1
                                        ; implicit-def: $vgpr2_vgpr3
	s_branch .LBB8_1339
.LBB8_1335:
	s_mov_b64 s[16:17], -1
                                        ; implicit-def: $vgpr2_vgpr3
.LBB8_1336:
	s_andn2_b64 vcc, exec, s[16:17]
	s_cbranch_vccnz .LBB8_1338
; %bb.1337:
	global_load_ushort v2, v[6:7], off
	s_waitcnt vmcnt(0)
	v_cvt_f64_u32_e32 v[2:3], v2
.LBB8_1338:
	s_mov_b64 s[16:17], 0
.LBB8_1339:
	s_andn2_b64 vcc, exec, s[16:17]
	s_cbranch_vccnz .LBB8_1349
; %bb.1340:
	global_load_ubyte v8, v[6:7], off
	s_movk_i32 s16, 0x7f
	s_waitcnt vmcnt(0)
	v_cmp_lt_i16_e32 vcc, s16, v8
	s_mov_b64 s[16:17], 0
	s_and_saveexec_b64 s[18:19], vcc
	s_xor_b64 s[18:19], exec, s[18:19]
	s_cbranch_execz .LBB8_1344
; %bb.1341:
	s_movk_i32 s16, 0x80
	v_cmp_eq_u16_e32 vcc, s16, v8
	s_mov_b64 s[16:17], -1
	s_and_saveexec_b64 s[20:21], vcc
; %bb.1342:
	s_xor_b64 s[16:17], exec, -1
; %bb.1343:
	s_or_b64 exec, exec, s[20:21]
	s_and_b64 s[16:17], s[16:17], exec
.LBB8_1344:
	s_or_saveexec_b64 s[18:19], s[18:19]
	v_bfrev_b32_e32 v2, 4
	v_mov_b32_e32 v3, 0x7ff80000
	s_xor_b64 exec, exec, s[18:19]
; %bb.1345:
	v_cmp_ne_u16_e32 vcc, 0, v8
	v_mov_b32_e32 v2, 0
	s_andn2_b64 s[16:17], s[16:17], exec
	s_and_b64 s[20:21], vcc, exec
	v_mov_b32_e32 v3, 0
	s_or_b64 s[16:17], s[16:17], s[20:21]
; %bb.1346:
	s_or_b64 exec, exec, s[18:19]
	s_and_saveexec_b64 s[18:19], s[16:17]
	s_cbranch_execz .LBB8_1348
; %bb.1347:
	v_and_b32_e32 v3, 0xffff, v8
	v_lshlrev_b32_e32 v2, 24, v8
	v_and_b32_e32 v8, 7, v3
	v_ffbh_u32_e32 v10, v8
	v_min_u32_e32 v10, 32, v10
	v_subrev_u32_e32 v11, 28, v10
	v_bfe_u32 v9, v3, 3, 4
	v_lshlrev_b32_e32 v3, v11, v3
	v_sub_u32_e32 v10, 29, v10
	v_and_b32_e32 v3, 7, v3
	v_cmp_eq_u32_e32 vcc, 0, v9
	v_cndmask_b32_e32 v9, v9, v10, vcc
	v_cndmask_b32_e32 v3, v8, v3, vcc
	v_mov_b32_e32 v8, 0x3b800000
	v_lshlrev_b32_e32 v3, 20, v3
	v_and_b32_e32 v2, 0x80000000, v2
	v_lshl_add_u32 v8, v9, 23, v8
	v_or3_b32 v2, v2, v8, v3
	v_cvt_f64_f32_e32 v[2:3], v2
.LBB8_1348:
	s_or_b64 exec, exec, s[18:19]
.LBB8_1349:
	s_mov_b64 s[16:17], -1
.LBB8_1350:
	s_mov_b64 s[18:19], 0
.LBB8_1351:
	s_and_b64 vcc, exec, s[18:19]
	s_cbranch_vccz .LBB8_1382
; %bb.1352:
	s_cmp_gt_i32 s22, 22
	s_cbranch_scc0 .LBB8_1364
; %bb.1353:
	s_cmp_lt_i32 s22, 24
	s_cbranch_scc1 .LBB8_1365
; %bb.1354:
	s_cmp_gt_i32 s22, 24
	s_cbranch_scc0 .LBB8_1366
; %bb.1355:
	global_load_ubyte v8, v[6:7], off
	s_movk_i32 s12, 0x7f
	s_waitcnt vmcnt(0)
	v_cmp_lt_i16_e32 vcc, s12, v8
	s_mov_b64 s[12:13], 0
	s_and_saveexec_b64 s[16:17], vcc
	s_xor_b64 s[16:17], exec, s[16:17]
	s_cbranch_execz .LBB8_1359
; %bb.1356:
	s_movk_i32 s12, 0x80
	v_cmp_eq_u16_e32 vcc, s12, v8
	s_mov_b64 s[12:13], -1
	s_and_saveexec_b64 s[18:19], vcc
; %bb.1357:
	s_xor_b64 s[12:13], exec, -1
; %bb.1358:
	s_or_b64 exec, exec, s[18:19]
	s_and_b64 s[12:13], s[12:13], exec
.LBB8_1359:
	s_or_saveexec_b64 s[16:17], s[16:17]
	v_bfrev_b32_e32 v2, 4
	v_mov_b32_e32 v3, 0x7ff80000
	s_xor_b64 exec, exec, s[16:17]
; %bb.1360:
	v_cmp_ne_u16_e32 vcc, 0, v8
	v_mov_b32_e32 v2, 0
	s_andn2_b64 s[12:13], s[12:13], exec
	s_and_b64 s[18:19], vcc, exec
	v_mov_b32_e32 v3, 0
	s_or_b64 s[12:13], s[12:13], s[18:19]
; %bb.1361:
	s_or_b64 exec, exec, s[16:17]
	s_and_saveexec_b64 s[16:17], s[12:13]
	s_cbranch_execz .LBB8_1363
; %bb.1362:
	v_and_b32_e32 v3, 0xffff, v8
	v_lshlrev_b32_e32 v2, 24, v8
	v_and_b32_e32 v8, 3, v3
	v_ffbh_u32_e32 v10, v8
	v_min_u32_e32 v10, 32, v10
	v_subrev_u32_e32 v11, 29, v10
	v_bfe_u32 v9, v3, 2, 5
	v_lshlrev_b32_e32 v3, v11, v3
	v_sub_u32_e32 v10, 30, v10
	v_and_b32_e32 v3, 3, v3
	v_cmp_eq_u32_e32 vcc, 0, v9
	v_cndmask_b32_e32 v9, v9, v10, vcc
	v_cndmask_b32_e32 v3, v8, v3, vcc
	v_mov_b32_e32 v8, 0x37800000
	v_lshlrev_b32_e32 v3, 21, v3
	v_and_b32_e32 v2, 0x80000000, v2
	v_lshl_add_u32 v8, v9, 23, v8
	v_or3_b32 v2, v2, v8, v3
	v_cvt_f64_f32_e32 v[2:3], v2
.LBB8_1363:
	s_or_b64 exec, exec, s[16:17]
	s_mov_b64 s[12:13], 0
	s_branch .LBB8_1367
.LBB8_1364:
	s_mov_b64 s[12:13], -1
                                        ; implicit-def: $vgpr2_vgpr3
	s_branch .LBB8_1373
.LBB8_1365:
	s_mov_b64 s[12:13], -1
                                        ; implicit-def: $vgpr2_vgpr3
	s_branch .LBB8_1370
.LBB8_1366:
	s_mov_b64 s[12:13], -1
                                        ; implicit-def: $vgpr2_vgpr3
.LBB8_1367:
	s_and_b64 vcc, exec, s[12:13]
	s_cbranch_vccz .LBB8_1369
; %bb.1368:
	global_load_ubyte v2, v[6:7], off
	s_mov_b32 s12, 0x7f800000
	s_waitcnt vmcnt(0)
	v_lshlrev_b32_e32 v2, 24, v2
	v_and_b32_e32 v3, 0x7f000000, v2
	v_ffbh_u32_e32 v8, v3
	v_min_u32_e32 v8, 32, v8
	v_sub_u32_e64 v8, v8, 4 clamp
	v_lshlrev_b32_e32 v10, v8, v3
	v_lshlrev_b32_e32 v8, 23, v8
	v_lshrrev_b32_e32 v10, 4, v10
	v_add_u32_e32 v9, 0x1000000, v3
	v_sub_u32_e32 v8, v10, v8
	v_ashrrev_i32_e32 v9, 8, v9
	v_add_u32_e32 v8, 0x3c000000, v8
	v_and_or_b32 v8, v9, s12, v8
	v_cmp_ne_u32_e32 vcc, 0, v3
	v_cndmask_b32_e32 v3, 0, v8, vcc
	s_brev_b32 s12, 1
	v_and_or_b32 v2, v2, s12, v3
	v_cvt_f64_f32_e32 v[2:3], v2
.LBB8_1369:
	s_mov_b64 s[12:13], 0
.LBB8_1370:
	s_andn2_b64 vcc, exec, s[12:13]
	s_cbranch_vccnz .LBB8_1372
; %bb.1371:
	global_load_ubyte v2, v[6:7], off
	s_movk_i32 s12, 0x7f00
	s_brev_b32 s13, 16
	s_waitcnt vmcnt(0)
	v_lshlrev_b16_e32 v3, 8, v2
	v_lshlrev_b32_e32 v2, 25, v2
	v_lshrrev_b32_e32 v8, 4, v2
	v_and_or_b32 v9, v3, s12, 0.5
	v_or_b32_e32 v8, 0x70000000, v8
	v_add_f32_e32 v9, -0.5, v9
	v_mul_f32_e32 v8, 0x7800000, v8
	v_cmp_gt_u32_e32 vcc, s13, v2
	v_bfe_i32 v3, v3, 0, 16
	v_cndmask_b32_e32 v2, v8, v9, vcc
	s_brev_b32 s12, 1
	v_and_or_b32 v2, v3, s12, v2
	v_cvt_f64_f32_e32 v[2:3], v2
.LBB8_1372:
	s_mov_b64 s[12:13], 0
	s_mov_b64 s[16:17], -1
.LBB8_1373:
	s_andn2_b64 vcc, exec, s[12:13]
	s_mov_b64 s[12:13], 0
	s_cbranch_vccnz .LBB8_1382
; %bb.1374:
	s_cmp_gt_i32 s22, 14
	s_cbranch_scc0 .LBB8_1377
; %bb.1375:
	s_cmp_eq_u32 s22, 15
	s_cbranch_scc0 .LBB8_1378
; %bb.1376:
	global_load_ushort v2, v[6:7], off
	s_mov_b64 s[0:1], 0
	s_mov_b64 s[16:17], -1
	s_waitcnt vmcnt(0)
	v_lshlrev_b32_e32 v2, 16, v2
	v_cvt_f64_f32_e32 v[2:3], v2
	s_branch .LBB8_1379
.LBB8_1377:
	s_mov_b64 s[18:19], -1
                                        ; implicit-def: $vgpr2_vgpr3
	s_branch .LBB8_1380
.LBB8_1378:
	s_mov_b64 s[0:1], -1
                                        ; implicit-def: $vgpr2_vgpr3
.LBB8_1379:
	s_mov_b64 s[18:19], 0
.LBB8_1380:
	s_and_b64 vcc, exec, s[18:19]
	s_cbranch_vccz .LBB8_1382
; %bb.1381:
	s_cmp_lg_u32 s22, 11
	s_mov_b64 s[12:13], -1
	s_cselect_b64 s[0:1], -1, 0
.LBB8_1382:
	s_and_b64 vcc, exec, s[0:1]
	s_cbranch_vccnz .LBB8_1449
; %bb.1383:
	s_andn2_b64 vcc, exec, s[12:13]
	s_cbranch_vccnz .LBB8_1385
.LBB8_1384:
	global_load_ubyte v3, v[6:7], off
	v_mov_b32_e32 v8, 0x3ff00000
	v_mov_b32_e32 v2, 0
	s_mov_b64 s[16:17], -1
	s_waitcnt vmcnt(0)
	v_cmp_ne_u16_e32 vcc, 0, v3
	v_cndmask_b32_e32 v3, 0, v8, vcc
.LBB8_1385:
	s_branch .LBB8_1313
.LBB8_1386:
	s_cmp_lt_i32 s22, 5
	s_cbranch_scc1 .LBB8_1391
; %bb.1387:
	s_cmp_lt_i32 s22, 8
	s_cbranch_scc1 .LBB8_1392
; %bb.1388:
	;; [unrolled: 3-line block ×3, first 2 shown]
	s_cmp_gt_i32 s22, 9
	s_cbranch_scc0 .LBB8_1394
; %bb.1390:
	global_load_dwordx2 v[2:3], v[6:7], off
	s_mov_b64 s[0:1], 0
	s_branch .LBB8_1395
.LBB8_1391:
	s_mov_b64 s[0:1], -1
                                        ; implicit-def: $vgpr2_vgpr3
	s_branch .LBB8_1413
.LBB8_1392:
	s_mov_b64 s[0:1], -1
                                        ; implicit-def: $vgpr2_vgpr3
	s_branch .LBB8_1401
.LBB8_1393:
	s_mov_b64 s[0:1], -1
                                        ; implicit-def: $vgpr2_vgpr3
	s_branch .LBB8_1398
.LBB8_1394:
	s_mov_b64 s[0:1], -1
                                        ; implicit-def: $vgpr2_vgpr3
.LBB8_1395:
	s_andn2_b64 vcc, exec, s[0:1]
	s_cbranch_vccnz .LBB8_1397
; %bb.1396:
	global_load_dword v2, v[6:7], off
	s_waitcnt vmcnt(0)
	v_cvt_f64_f32_e32 v[2:3], v2
.LBB8_1397:
	s_mov_b64 s[0:1], 0
.LBB8_1398:
	s_andn2_b64 vcc, exec, s[0:1]
	s_cbranch_vccnz .LBB8_1400
; %bb.1399:
	global_load_dword v2, v[6:7], off
	s_waitcnt vmcnt(0)
	v_cvt_f32_f16_e32 v2, v2
	v_cvt_f64_f32_e32 v[2:3], v2
.LBB8_1400:
	s_mov_b64 s[0:1], 0
.LBB8_1401:
	s_andn2_b64 vcc, exec, s[0:1]
	s_cbranch_vccnz .LBB8_1412
; %bb.1402:
	s_cmp_lt_i32 s22, 6
	s_cbranch_scc1 .LBB8_1405
; %bb.1403:
	s_cmp_gt_i32 s22, 6
	s_cbranch_scc0 .LBB8_1406
; %bb.1404:
	global_load_dwordx2 v[2:3], v[6:7], off
	s_mov_b64 s[0:1], 0
	s_branch .LBB8_1407
.LBB8_1405:
	s_mov_b64 s[0:1], -1
                                        ; implicit-def: $vgpr2_vgpr3
	s_branch .LBB8_1410
.LBB8_1406:
	s_mov_b64 s[0:1], -1
                                        ; implicit-def: $vgpr2_vgpr3
.LBB8_1407:
	s_andn2_b64 vcc, exec, s[0:1]
	s_cbranch_vccnz .LBB8_1409
; %bb.1408:
	global_load_dword v2, v[6:7], off
	s_waitcnt vmcnt(0)
	v_cvt_f64_f32_e32 v[2:3], v2
.LBB8_1409:
	s_mov_b64 s[0:1], 0
.LBB8_1410:
	s_andn2_b64 vcc, exec, s[0:1]
	s_cbranch_vccnz .LBB8_1412
; %bb.1411:
	global_load_ushort v2, v[6:7], off
	s_waitcnt vmcnt(0)
	v_cvt_f32_f16_e32 v2, v2
	v_cvt_f64_f32_e32 v[2:3], v2
.LBB8_1412:
	s_mov_b64 s[0:1], 0
.LBB8_1413:
	s_andn2_b64 vcc, exec, s[0:1]
	s_cbranch_vccnz .LBB8_1433
; %bb.1414:
	s_cmp_lt_i32 s22, 2
	s_cbranch_scc1 .LBB8_1418
; %bb.1415:
	s_cmp_lt_i32 s22, 3
	s_cbranch_scc1 .LBB8_1419
; %bb.1416:
	s_cmp_gt_i32 s22, 3
	s_cbranch_scc0 .LBB8_1420
; %bb.1417:
	global_load_dwordx2 v[2:3], v[6:7], off
	s_mov_b64 s[0:1], 0
	s_waitcnt vmcnt(0)
	v_cvt_f64_i32_e32 v[8:9], v3
	v_cvt_f64_u32_e32 v[2:3], v2
	v_ldexp_f64 v[8:9], v[8:9], 32
	v_add_f64 v[2:3], v[8:9], v[2:3]
	s_branch .LBB8_1421
.LBB8_1418:
	s_mov_b64 s[0:1], -1
                                        ; implicit-def: $vgpr2_vgpr3
	s_branch .LBB8_1427
.LBB8_1419:
	s_mov_b64 s[0:1], -1
                                        ; implicit-def: $vgpr2_vgpr3
	s_branch .LBB8_1424
.LBB8_1420:
	s_mov_b64 s[0:1], -1
                                        ; implicit-def: $vgpr2_vgpr3
.LBB8_1421:
	s_andn2_b64 vcc, exec, s[0:1]
	s_cbranch_vccnz .LBB8_1423
; %bb.1422:
	global_load_dword v2, v[6:7], off
	s_waitcnt vmcnt(0)
	v_cvt_f64_i32_e32 v[2:3], v2
.LBB8_1423:
	s_mov_b64 s[0:1], 0
.LBB8_1424:
	s_andn2_b64 vcc, exec, s[0:1]
	s_cbranch_vccnz .LBB8_1426
; %bb.1425:
	global_load_sshort v2, v[6:7], off
	s_waitcnt vmcnt(0)
	v_cvt_f64_i32_e32 v[2:3], v2
.LBB8_1426:
	s_mov_b64 s[0:1], 0
.LBB8_1427:
	s_andn2_b64 vcc, exec, s[0:1]
	s_cbranch_vccnz .LBB8_1433
; %bb.1428:
	s_cmp_gt_i32 s22, 0
	s_cbranch_scc0 .LBB8_1430
; %bb.1429:
	global_load_sbyte v2, v[6:7], off
	s_mov_b64 s[0:1], 0
	s_waitcnt vmcnt(0)
	v_cvt_f64_i32_e32 v[2:3], v2
	s_branch .LBB8_1431
.LBB8_1430:
	s_mov_b64 s[0:1], -1
                                        ; implicit-def: $vgpr2_vgpr3
.LBB8_1431:
	s_andn2_b64 vcc, exec, s[0:1]
	s_cbranch_vccnz .LBB8_1433
; %bb.1432:
	global_load_ubyte v2, v[6:7], off
	s_waitcnt vmcnt(0)
	v_cvt_f64_u32_e32 v[2:3], v2
.LBB8_1433:
.LBB8_1434:
	s_mov_b32 s0, 0
	s_mov_b32 s1, 0x40200000
	s_waitcnt vmcnt(0)
	v_cmp_le_f64_e64 s[0:1], |v[2:3]|, s[0:1]
                                        ; implicit-def: $vgpr8_vgpr9
	s_and_saveexec_b64 s[12:13], s[0:1]
	s_xor_b64 s[0:1], exec, s[12:13]
	s_cbranch_execz .LBB8_1436
; %bb.1435:
	v_fma_f64 v[6:7], |v[2:3]|, 0.5, -2.0
	v_mov_b32_e32 v8, 0x977da589
	v_mov_b32_e32 v9, 0x3c833362
	s_mov_b32 s13, 0xbc545cb7
	s_mov_b32 s12, 0x2134d0ef
	;; [unrolled: 1-line block ×4, first 2 shown]
	v_mov_b32_e32 v17, 0xfca7ab0c
	v_fma_f64 v[8:9], v[6:7], s[12:13], v[8:9]
	s_mov_b32 s13, 0x3c545cb7
	v_mov_b32_e32 v18, 0x3e928af3
	v_fma_f64 v[10:11], v[6:7], v[8:9], s[12:13]
	s_mov_b32 s12, 0x721ebbb4
	s_mov_b32 s13, 0xbcb184eb
	v_add_f64 v[10:11], v[10:11], s[12:13]
	s_mov_b32 s12, 0x93f65eba
	s_mov_b32 s13, 0x3cdee6d8
	v_fma_f64 v[8:9], v[6:7], v[10:11], -v[8:9]
	v_add_f64 v[8:9], v[8:9], s[12:13]
	s_mov_b32 s12, 0xc297fbeb
	s_mov_b32 s13, 0xbd0a5022
	v_fma_f64 v[10:11], v[6:7], v[8:9], -v[10:11]
	;; [unrolled: 4-line block ×20, first 2 shown]
	v_add_f64 v[10:11], v[10:11], s[12:13]
	s_mov_b32 s12, 0x652b82fe
	s_mov_b32 s13, 0x3ff71547
	v_mul_f64 v[15:16], |v[2:3]|, s[12:13]
	s_mov_b32 s12, 0xf3dde3dd
	s_mov_b32 s13, 0x3f859961
	v_fma_f64 v[8:9], v[6:7], v[10:11], -v[8:9]
	v_rndne_f64_e32 v[15:16], v[15:16]
	v_add_f64 v[8:9], v[8:9], s[12:13]
	s_mov_b32 s12, 0xfefa39ef
	s_mov_b32 s13, 0xbfe62e42
	v_fma_f64 v[2:3], v[15:16], s[12:13], |v[2:3]|
	s_mov_b32 s12, 0xf121b6f0
	s_mov_b32 s13, 0xbf984e9e
	v_fma_f64 v[10:11], v[6:7], v[8:9], -v[10:11]
	v_fma_f64 v[2:3], v[15:16], s[16:17], v[2:3]
	s_mov_b32 s16, 0x623fde64
	s_mov_b32 s17, 0x3ec71dee
	v_add_f64 v[10:11], v[10:11], s[12:13]
	s_mov_b32 s12, 0x6a5dcb37
	s_mov_b32 s13, 0x3e5ade15
	v_fma_f64 v[17:18], v[2:3], s[12:13], v[17:18]
	s_mov_b32 s12, 0xcea8a32d
	s_mov_b32 s13, 0x3fa93e8a
	v_fma_f64 v[8:9], v[6:7], v[10:11], -v[8:9]
	v_fma_f64 v[17:18], v[2:3], v[17:18], s[16:17]
	s_mov_b32 s16, 0x14761f6e
	s_mov_b32 s17, 0x3f2a01a0
	v_add_f64 v[8:9], v[8:9], s[12:13]
	s_mov_b32 s12, 0x7c89e6b0
	s_mov_b32 s13, 0x3efa0199
	v_fma_f64 v[17:18], v[2:3], v[17:18], s[12:13]
	;; [unrolled: 10-line block ×4, first 2 shown]
	s_mov_b32 s12, 0xc057cd8d
	s_mov_b32 s13, 0xbfd37feb
	v_fma_f64 v[10:11], v[6:7], v[8:9], -v[10:11]
	v_fma_f64 v[17:18], v[2:3], v[17:18], s[16:17]
	v_add_f64 v[10:11], v[10:11], s[12:13]
	s_mov_b32 s12, 11
	s_mov_b32 s13, 0x3fe00000
	v_fma_f64 v[17:18], v[2:3], v[17:18], s[12:13]
	s_mov_b32 s12, 0x9035a22a
	s_mov_b32 s13, 0x3fe5a84e
	v_fma_f64 v[6:7], v[6:7], v[10:11], -v[8:9]
	v_fma_f64 v[10:11], v[2:3], v[17:18], 1.0
	v_add_f64 v[6:7], v[6:7], s[12:13]
	v_fma_f64 v[2:3], v[2:3], v[10:11], 1.0
	v_add_f64 v[6:7], v[6:7], -v[8:9]
	v_cvt_i32_f64_e32 v8, v[15:16]
	v_ldexp_f64 v[2:3], v[2:3], v8
	v_mul_f64 v[6:7], v[6:7], 0.5
	v_mul_f64 v[8:9], v[2:3], v[6:7]
                                        ; implicit-def: $vgpr2_vgpr3
.LBB8_1436:
	s_andn2_saveexec_b64 s[12:13], s[0:1]
	s_cbranch_execz .LBB8_1438
; %bb.1437:
	s_mov_b32 s0, 0
	v_and_b32_e32 v7, 0x7fffffff, v3
	v_mov_b32_e32 v6, v2
	s_mov_b32 s1, 0x40400000
	v_div_scale_f64 v[8:9], s[16:17], v[6:7], v[6:7], s[0:1]
	v_div_scale_f64 v[6:7], vcc, s[0:1], v[6:7], s[0:1]
	s_mov_b32 s16, 0x3b39803f
	s_mov_b32 s17, 0xbc7abc9e
	v_mov_b32_e32 v19, 0xfca7ab0c
	v_mov_b32_e32 v20, 0x3e928af3
	s_mov_b32 s18, 0x623fde64
	s_mov_b32 s19, 0x3ec71dee
	v_mov_b32_e32 v13, 0x100
	v_rcp_f64_e32 v[10:11], v[8:9]
	v_fma_f64 v[15:16], -v[8:9], v[10:11], 1.0
	v_fma_f64 v[10:11], v[10:11], v[15:16], v[10:11]
	v_fma_f64 v[15:16], -v[8:9], v[10:11], 1.0
	v_fma_f64 v[10:11], v[10:11], v[15:16], v[10:11]
	v_mul_f64 v[15:16], v[6:7], v[10:11]
	v_fma_f64 v[6:7], -v[8:9], v[15:16], v[6:7]
	v_mov_b32_e32 v8, 0x66119130
	v_mov_b32_e32 v9, 0xbc5646da
	v_div_fmas_f64 v[6:7], v[6:7], v[10:11], v[15:16]
	v_div_fixup_f64 v[6:7], v[6:7], |v[2:3]|, s[0:1]
	s_mov_b32 s1, 0xbc60adb7
	s_mov_b32 s0, 0x54ca8b19
	v_add_f64 v[6:7], v[6:7], -2.0
	v_fma_f64 v[8:9], v[6:7], s[0:1], v[8:9]
	s_mov_b32 s1, 0x3c60adb7
	v_fma_f64 v[10:11], v[6:7], v[8:9], s[0:1]
	s_mov_b32 s0, 0x12d98421
	s_mov_b32 s1, 0x3c89be18
	v_add_f64 v[10:11], v[10:11], s[0:1]
	s_mov_b32 s0, 0x76041cd
	s_mov_b32 s1, 0x3c83f3dd
	v_fma_f64 v[8:9], v[6:7], v[10:11], -v[8:9]
	v_add_f64 v[8:9], v[8:9], s[0:1]
	s_mov_b32 s0, 0xabd21fe4
	s_mov_b32 s1, 0xbcb4600b
	v_fma_f64 v[10:11], v[6:7], v[8:9], -v[10:11]
	;; [unrolled: 4-line block ×15, first 2 shown]
	v_add_f64 v[8:9], v[8:9], s[0:1]
	s_mov_b32 s0, 0x652b82fe
	s_mov_b32 s1, 0x3ff71547
	v_mul_f64 v[15:16], |v[2:3]|, s[0:1]
	s_mov_b32 s0, 0xa9225b87
	s_mov_b32 s1, 0x3e2d2c64
	v_fma_f64 v[10:11], v[6:7], v[8:9], -v[10:11]
	v_rndne_f64_e32 v[15:16], v[15:16]
	v_add_f64 v[10:11], v[10:11], s[0:1]
	s_mov_b32 s0, 0xfefa39ef
	s_mov_b32 s1, 0xbfe62e42
	v_fma_f64 v[17:18], v[15:16], s[0:1], |v[2:3]|
	s_mov_b32 s0, 0x80d6d56d
	s_mov_b32 s1, 0x3e585692
	v_fma_f64 v[8:9], v[6:7], v[10:11], -v[8:9]
	v_fma_f64 v[17:18], v[15:16], s[16:17], v[17:18]
	s_mov_b32 s16, 0xd9cd616e
	s_mov_b32 s17, 0x3e8b8007
	v_add_f64 v[8:9], v[8:9], s[0:1]
	s_mov_b32 s0, 0x6a5dcb37
	s_mov_b32 s1, 0x3e5ade15
	v_fma_f64 v[19:20], v[17:18], s[0:1], v[19:20]
	s_mov_b32 s0, 0
	s_brev_b32 s1, 8
	v_cmp_lt_f64_e64 vcc, |v[2:3]|, s[0:1]
	s_mov_b32 s0, 0x7c89e6b0
	v_fma_f64 v[10:11], v[6:7], v[8:9], -v[10:11]
	s_mov_b32 s1, 0x3efa0199
	v_fma_f64 v[19:20], v[17:18], v[19:20], s[18:19]
	v_cndmask_b32_e32 v13, 0, v13, vcc
	v_ldexp_f64 v[21:22], |v[2:3]|, v13
	v_add_f64 v[10:11], v[10:11], s[16:17]
	s_mov_b32 s16, 0x14761f6e
	s_mov_b32 s17, 0x3f2a01a0
	v_fma_f64 v[19:20], v[17:18], v[19:20], s[0:1]
	s_mov_b32 s0, 0xc101c586
	s_mov_b32 s1, 0x3ec8412b
	v_mov_b32_e32 v13, 0x7ff00000
	v_rsq_f64_e32 v[23:24], v[21:22]
	v_fma_f64 v[8:9], v[6:7], v[10:11], -v[8:9]
	v_fma_f64 v[19:20], v[17:18], v[19:20], s[16:17]
	s_mov_b32 s16, 0x11122322
	s_mov_b32 s17, 0x3f811111
	v_add_f64 v[8:9], v[8:9], s[0:1]
	s_mov_b32 s0, 0x1852b7b0
	s_mov_b32 s1, 0x3f56c16c
	v_fma_f64 v[19:20], v[17:18], v[19:20], s[0:1]
	s_mov_b32 s0, 0x78999e52
	s_mov_b32 s1, 0x3f120fa3
	v_mul_f64 v[25:26], v[21:22], v[23:24]
	v_fma_f64 v[10:11], v[6:7], v[8:9], -v[10:11]
	v_mul_f64 v[23:24], v[23:24], 0.5
	v_fma_f64 v[19:20], v[17:18], v[19:20], s[16:17]
	s_mov_b32 s16, 0x55555511
	s_mov_b32 s17, 0x3fc55555
	v_add_f64 v[10:11], v[10:11], s[0:1]
	s_mov_b32 s0, 0x555502a1
	s_mov_b32 s1, 0x3fa55555
	v_fma_f64 v[27:28], -v[23:24], v[25:26], 0.5
	v_fma_f64 v[19:20], v[17:18], v[19:20], s[0:1]
	s_mov_b32 s0, 0xa2e59049
	s_mov_b32 s1, 0x3f6b998c
	v_fma_f64 v[8:9], v[6:7], v[10:11], -v[8:9]
	v_fma_f64 v[25:26], v[25:26], v[27:28], v[25:26]
	v_fma_f64 v[19:20], v[17:18], v[19:20], s[16:17]
	;; [unrolled: 1-line block ×3, first 2 shown]
	v_add_f64 v[8:9], v[8:9], s[0:1]
	s_mov_b32 s0, 11
	s_mov_b32 s1, 0x3fe00000
	v_fma_f64 v[27:28], -v[25:26], v[25:26], v[21:22]
	v_fma_f64 v[19:20], v[17:18], v[19:20], s[0:1]
	s_mov_b32 s0, 0xaca809cb
	s_mov_b32 s1, 0x3fe9be62
	v_fma_f64 v[6:7], v[6:7], v[8:9], -v[10:11]
	v_fma_f64 v[8:9], v[27:28], v[23:24], v[25:26]
	v_fma_f64 v[19:20], v[17:18], v[19:20], 1.0
	v_add_f64 v[6:7], v[6:7], s[0:1]
	s_mov_b32 s0, 0
	s_mov_b32 s1, 0x40900000
	v_fma_f64 v[25:26], -v[8:9], v[8:9], v[21:22]
	v_fma_f64 v[17:18], v[17:18], v[19:20], 1.0
	v_cmp_ngt_f64_e64 s[0:1], |v[2:3]|, s[0:1]
	v_add_f64 v[6:7], v[6:7], -v[10:11]
	v_cvt_i32_f64_e32 v10, v[15:16]
	v_mov_b32_e32 v15, 0x260
	v_fma_f64 v[8:9], v[25:26], v[23:24], v[8:9]
	v_ldexp_f64 v[10:11], v[17:18], v10
	v_mul_f64 v[2:3], v[6:7], 0.5
	v_mov_b32_e32 v6, 0xffffff80
	v_cndmask_b32_e32 v6, 0, v6, vcc
	v_ldexp_f64 v[6:7], v[8:9], v6
	v_cmp_class_f64_e32 vcc, v[21:22], v15
	v_cndmask_b32_e64 v9, v13, v11, s[0:1]
	v_cndmask_b32_e64 v8, 0, v10, s[0:1]
	v_mul_f64 v[2:3], v[8:9], v[2:3]
	v_cndmask_b32_e32 v7, v7, v22, vcc
	v_cndmask_b32_e32 v6, v6, v21, vcc
	v_div_scale_f64 v[8:9], s[0:1], v[6:7], v[6:7], v[2:3]
	v_div_scale_f64 v[17:18], vcc, v[2:3], v[6:7], v[2:3]
	v_rcp_f64_e32 v[10:11], v[8:9]
	v_fma_f64 v[15:16], -v[8:9], v[10:11], 1.0
	v_fma_f64 v[10:11], v[10:11], v[15:16], v[10:11]
	v_fma_f64 v[15:16], -v[8:9], v[10:11], 1.0
	v_fma_f64 v[10:11], v[10:11], v[15:16], v[10:11]
	v_mul_f64 v[15:16], v[17:18], v[10:11]
	v_fma_f64 v[8:9], -v[8:9], v[15:16], v[17:18]
	v_div_fmas_f64 v[8:9], v[8:9], v[10:11], v[15:16]
	v_div_fixup_f64 v[8:9], v[8:9], v[6:7], v[2:3]
.LBB8_1438:
	s_or_b64 exec, exec, s[12:13]
	v_add_u32_e32 v2, s3, v12
	v_ashrrev_i32_e32 v3, 31, v2
	v_mov_b32_e32 v7, s11
	v_add_co_u32_e32 v6, vcc, s10, v2
	s_cmp_lt_i32 s22, 11
	v_addc_co_u32_e32 v7, vcc, v7, v3, vcc
	s_cbranch_scc1 .LBB8_1445
; %bb.1439:
	s_cmp_gt_i32 s22, 25
	s_mov_b64 s[10:11], 0
	s_cbranch_scc0 .LBB8_1446
; %bb.1440:
	s_cmp_gt_i32 s22, 28
	s_cbranch_scc0 .LBB8_1447
; %bb.1441:
	s_cmp_gt_i32 s22, 43
	;; [unrolled: 3-line block ×3, first 2 shown]
	s_cbranch_scc0 .LBB8_1450
; %bb.1443:
	s_cmp_eq_u32 s22, 46
	s_mov_b64 s[16:17], 0
	s_cbranch_scc0 .LBB8_1451
; %bb.1444:
	global_load_dword v2, v[6:7], off
	s_mov_b64 s[0:1], 0
	s_mov_b64 s[12:13], -1
	s_waitcnt vmcnt(0)
	v_lshlrev_b32_e32 v2, 16, v2
	v_cvt_f64_f32_e32 v[2:3], v2
	s_branch .LBB8_1452
.LBB8_1445:
	s_mov_b64 s[0:1], -1
	s_mov_b64 s[12:13], 0
                                        ; implicit-def: $vgpr2_vgpr3
	s_branch .LBB8_1518
.LBB8_1446:
	s_mov_b64 s[16:17], -1
	s_mov_b64 s[12:13], 0
	s_mov_b64 s[0:1], 0
                                        ; implicit-def: $vgpr2_vgpr3
	s_branch .LBB8_1483
.LBB8_1447:
	s_mov_b64 s[16:17], -1
	s_mov_b64 s[12:13], 0
	s_mov_b64 s[0:1], 0
                                        ; implicit-def: $vgpr2_vgpr3
	s_branch .LBB8_1462
.LBB8_1448:
	s_mov_b64 s[16:17], -1
	s_mov_b64 s[12:13], 0
	s_mov_b64 s[0:1], 0
                                        ; implicit-def: $vgpr2_vgpr3
	s_branch .LBB8_1457
.LBB8_1449:
	s_trap 2
	s_or_b64 s[14:15], s[14:15], exec
	s_cbranch_execz .LBB8_1384
	s_branch .LBB8_1385
.LBB8_1450:
	s_mov_b64 s[16:17], -1
	s_mov_b64 s[12:13], 0
	s_mov_b64 s[0:1], 0
                                        ; implicit-def: $vgpr2_vgpr3
	s_branch .LBB8_1452
.LBB8_1451:
	s_mov_b64 s[0:1], -1
                                        ; implicit-def: $vgpr2_vgpr3
	s_mov_b64 s[12:13], 0
.LBB8_1452:
	s_and_b64 vcc, exec, s[16:17]
	s_cbranch_vccz .LBB8_1456
; %bb.1453:
	s_cmp_eq_u32 s22, 44
	s_cbranch_scc0 .LBB8_1455
; %bb.1454:
	global_load_ubyte v10, v[6:7], off
	s_movk_i32 s3, 0xff
	v_bfrev_b32_e32 v11, 4
	v_mov_b32_e32 v12, 0x7ff80000
	v_bfrev_b32_e32 v13, 28
	s_mov_b64 s[0:1], 0
	s_mov_b64 s[12:13], -1
	s_waitcnt vmcnt(0)
	v_lshlrev_b32_e32 v2, 23, v10
	v_cvt_f64_f32_e32 v[2:3], v2
	v_cmp_ne_u32_e32 vcc, s3, v10
	v_cndmask_b32_e32 v2, v11, v2, vcc
	v_cndmask_b32_e32 v3, v12, v3, vcc
	v_cmp_ne_u32_e32 vcc, 0, v10
	v_cndmask_b32_e32 v3, v13, v3, vcc
	v_cndmask_b32_e32 v2, 0, v2, vcc
	s_branch .LBB8_1456
.LBB8_1455:
	s_mov_b64 s[0:1], -1
                                        ; implicit-def: $vgpr2_vgpr3
.LBB8_1456:
	s_mov_b64 s[16:17], 0
.LBB8_1457:
	s_and_b64 vcc, exec, s[16:17]
	s_cbranch_vccz .LBB8_1461
; %bb.1458:
	s_cmp_eq_u32 s22, 29
	s_cbranch_scc0 .LBB8_1460
; %bb.1459:
	global_load_dwordx2 v[2:3], v[6:7], off
	s_mov_b64 s[0:1], 0
	s_mov_b64 s[12:13], -1
	s_mov_b64 s[16:17], 0
	s_waitcnt vmcnt(0)
	v_cvt_f64_u32_e32 v[10:11], v3
	v_cvt_f64_u32_e32 v[2:3], v2
	v_ldexp_f64 v[10:11], v[10:11], 32
	v_add_f64 v[2:3], v[10:11], v[2:3]
	s_branch .LBB8_1462
.LBB8_1460:
	s_mov_b64 s[0:1], -1
                                        ; implicit-def: $vgpr2_vgpr3
.LBB8_1461:
	s_mov_b64 s[16:17], 0
.LBB8_1462:
	s_and_b64 vcc, exec, s[16:17]
	s_cbranch_vccz .LBB8_1482
; %bb.1463:
	s_cmp_lt_i32 s22, 27
	s_cbranch_scc1 .LBB8_1466
; %bb.1464:
	s_cmp_gt_i32 s22, 27
	s_cbranch_scc0 .LBB8_1467
; %bb.1465:
	global_load_dword v2, v[6:7], off
	s_mov_b64 s[12:13], 0
	s_waitcnt vmcnt(0)
	v_cvt_f64_u32_e32 v[2:3], v2
	s_branch .LBB8_1468
.LBB8_1466:
	s_mov_b64 s[12:13], -1
                                        ; implicit-def: $vgpr2_vgpr3
	s_branch .LBB8_1471
.LBB8_1467:
	s_mov_b64 s[12:13], -1
                                        ; implicit-def: $vgpr2_vgpr3
.LBB8_1468:
	s_andn2_b64 vcc, exec, s[12:13]
	s_cbranch_vccnz .LBB8_1470
; %bb.1469:
	global_load_ushort v2, v[6:7], off
	s_waitcnt vmcnt(0)
	v_cvt_f64_u32_e32 v[2:3], v2
.LBB8_1470:
	s_mov_b64 s[12:13], 0
.LBB8_1471:
	s_andn2_b64 vcc, exec, s[12:13]
	s_cbranch_vccnz .LBB8_1481
; %bb.1472:
	global_load_ubyte v10, v[6:7], off
	s_movk_i32 s3, 0x7f
	s_mov_b64 s[12:13], 0
	s_waitcnt vmcnt(0)
	v_cmp_lt_i16_e32 vcc, s3, v10
	s_and_saveexec_b64 s[16:17], vcc
	s_xor_b64 s[16:17], exec, s[16:17]
	s_cbranch_execz .LBB8_1476
; %bb.1473:
	s_movk_i32 s3, 0x80
	v_cmp_eq_u16_e32 vcc, s3, v10
	s_mov_b64 s[12:13], -1
	s_and_saveexec_b64 s[18:19], vcc
; %bb.1474:
	s_xor_b64 s[12:13], exec, -1
; %bb.1475:
	s_or_b64 exec, exec, s[18:19]
	s_and_b64 s[12:13], s[12:13], exec
.LBB8_1476:
	s_or_saveexec_b64 s[16:17], s[16:17]
	v_bfrev_b32_e32 v2, 4
	v_mov_b32_e32 v3, 0x7ff80000
	s_xor_b64 exec, exec, s[16:17]
; %bb.1477:
	v_cmp_ne_u16_e32 vcc, 0, v10
	v_mov_b32_e32 v2, 0
	s_andn2_b64 s[12:13], s[12:13], exec
	s_and_b64 s[18:19], vcc, exec
	v_mov_b32_e32 v3, 0
	s_or_b64 s[12:13], s[12:13], s[18:19]
; %bb.1478:
	s_or_b64 exec, exec, s[16:17]
	s_and_saveexec_b64 s[16:17], s[12:13]
	s_cbranch_execz .LBB8_1480
; %bb.1479:
	v_and_b32_e32 v3, 0xffff, v10
	v_lshlrev_b32_e32 v2, 24, v10
	v_and_b32_e32 v10, 7, v3
	v_ffbh_u32_e32 v12, v10
	v_min_u32_e32 v12, 32, v12
	v_subrev_u32_e32 v13, 28, v12
	v_bfe_u32 v11, v3, 3, 4
	v_lshlrev_b32_e32 v3, v13, v3
	v_sub_u32_e32 v12, 29, v12
	v_and_b32_e32 v3, 7, v3
	v_cmp_eq_u32_e32 vcc, 0, v11
	v_cndmask_b32_e32 v11, v11, v12, vcc
	v_cndmask_b32_e32 v3, v10, v3, vcc
	v_mov_b32_e32 v10, 0x3b800000
	v_lshlrev_b32_e32 v3, 20, v3
	v_and_b32_e32 v2, 0x80000000, v2
	v_lshl_add_u32 v10, v11, 23, v10
	v_or3_b32 v2, v2, v10, v3
	v_cvt_f64_f32_e32 v[2:3], v2
.LBB8_1480:
	s_or_b64 exec, exec, s[16:17]
.LBB8_1481:
	s_mov_b64 s[12:13], -1
.LBB8_1482:
	s_mov_b64 s[16:17], 0
.LBB8_1483:
	s_and_b64 vcc, exec, s[16:17]
	s_cbranch_vccz .LBB8_1514
; %bb.1484:
	s_cmp_gt_i32 s22, 22
	s_cbranch_scc0 .LBB8_1496
; %bb.1485:
	s_cmp_lt_i32 s22, 24
	s_cbranch_scc1 .LBB8_1497
; %bb.1486:
	s_cmp_gt_i32 s22, 24
	s_cbranch_scc0 .LBB8_1498
; %bb.1487:
	global_load_ubyte v10, v[6:7], off
	s_movk_i32 s3, 0x7f
	s_waitcnt vmcnt(0)
	v_cmp_lt_i16_e32 vcc, s3, v10
	s_and_saveexec_b64 s[12:13], vcc
	s_xor_b64 s[12:13], exec, s[12:13]
	s_cbranch_execz .LBB8_1491
; %bb.1488:
	s_movk_i32 s3, 0x80
	v_cmp_eq_u16_e32 vcc, s3, v10
	s_mov_b64 s[10:11], -1
	s_and_saveexec_b64 s[16:17], vcc
; %bb.1489:
	s_xor_b64 s[10:11], exec, -1
; %bb.1490:
	s_or_b64 exec, exec, s[16:17]
	s_and_b64 s[10:11], s[10:11], exec
.LBB8_1491:
	s_or_saveexec_b64 s[12:13], s[12:13]
	v_bfrev_b32_e32 v2, 4
	v_mov_b32_e32 v3, 0x7ff80000
	s_xor_b64 exec, exec, s[12:13]
; %bb.1492:
	v_cmp_ne_u16_e32 vcc, 0, v10
	v_mov_b32_e32 v2, 0
	s_andn2_b64 s[10:11], s[10:11], exec
	s_and_b64 s[16:17], vcc, exec
	v_mov_b32_e32 v3, 0
	s_or_b64 s[10:11], s[10:11], s[16:17]
; %bb.1493:
	s_or_b64 exec, exec, s[12:13]
	s_and_saveexec_b64 s[12:13], s[10:11]
	s_cbranch_execz .LBB8_1495
; %bb.1494:
	v_and_b32_e32 v3, 0xffff, v10
	v_lshlrev_b32_e32 v2, 24, v10
	v_and_b32_e32 v10, 3, v3
	v_ffbh_u32_e32 v12, v10
	v_min_u32_e32 v12, 32, v12
	v_subrev_u32_e32 v13, 29, v12
	v_bfe_u32 v11, v3, 2, 5
	v_lshlrev_b32_e32 v3, v13, v3
	v_sub_u32_e32 v12, 30, v12
	v_and_b32_e32 v3, 3, v3
	v_cmp_eq_u32_e32 vcc, 0, v11
	v_cndmask_b32_e32 v11, v11, v12, vcc
	v_cndmask_b32_e32 v3, v10, v3, vcc
	v_mov_b32_e32 v10, 0x37800000
	v_lshlrev_b32_e32 v3, 21, v3
	v_and_b32_e32 v2, 0x80000000, v2
	v_lshl_add_u32 v10, v11, 23, v10
	v_or3_b32 v2, v2, v10, v3
	v_cvt_f64_f32_e32 v[2:3], v2
.LBB8_1495:
	s_or_b64 exec, exec, s[12:13]
	s_mov_b64 s[10:11], 0
	s_branch .LBB8_1499
.LBB8_1496:
	s_mov_b64 s[10:11], -1
                                        ; implicit-def: $vgpr2_vgpr3
	s_branch .LBB8_1505
.LBB8_1497:
	s_mov_b64 s[10:11], -1
                                        ; implicit-def: $vgpr2_vgpr3
	s_branch .LBB8_1502
.LBB8_1498:
	s_mov_b64 s[10:11], -1
                                        ; implicit-def: $vgpr2_vgpr3
.LBB8_1499:
	s_and_b64 vcc, exec, s[10:11]
	s_cbranch_vccz .LBB8_1501
; %bb.1500:
	global_load_ubyte v2, v[6:7], off
	s_mov_b32 s3, 0x7f800000
	s_waitcnt vmcnt(0)
	v_lshlrev_b32_e32 v2, 24, v2
	v_and_b32_e32 v3, 0x7f000000, v2
	v_ffbh_u32_e32 v10, v3
	v_min_u32_e32 v10, 32, v10
	v_sub_u32_e64 v10, v10, 4 clamp
	v_lshlrev_b32_e32 v12, v10, v3
	v_lshlrev_b32_e32 v10, 23, v10
	v_lshrrev_b32_e32 v12, 4, v12
	v_add_u32_e32 v11, 0x1000000, v3
	v_sub_u32_e32 v10, v12, v10
	v_ashrrev_i32_e32 v11, 8, v11
	v_add_u32_e32 v10, 0x3c000000, v10
	v_and_or_b32 v10, v11, s3, v10
	v_cmp_ne_u32_e32 vcc, 0, v3
	v_cndmask_b32_e32 v3, 0, v10, vcc
	s_brev_b32 s3, 1
	v_and_or_b32 v2, v2, s3, v3
	v_cvt_f64_f32_e32 v[2:3], v2
.LBB8_1501:
	s_mov_b64 s[10:11], 0
.LBB8_1502:
	s_andn2_b64 vcc, exec, s[10:11]
	s_cbranch_vccnz .LBB8_1504
; %bb.1503:
	global_load_ubyte v2, v[6:7], off
	s_movk_i32 s3, 0x7f00
	s_brev_b32 s10, 16
	s_waitcnt vmcnt(0)
	v_lshlrev_b16_e32 v3, 8, v2
	v_lshlrev_b32_e32 v2, 25, v2
	v_lshrrev_b32_e32 v10, 4, v2
	v_and_or_b32 v11, v3, s3, 0.5
	v_or_b32_e32 v10, 0x70000000, v10
	v_add_f32_e32 v11, -0.5, v11
	v_mul_f32_e32 v10, 0x7800000, v10
	v_cmp_gt_u32_e32 vcc, s10, v2
	v_bfe_i32 v3, v3, 0, 16
	v_cndmask_b32_e32 v2, v10, v11, vcc
	s_brev_b32 s3, 1
	v_and_or_b32 v2, v3, s3, v2
	v_cvt_f64_f32_e32 v[2:3], v2
.LBB8_1504:
	s_mov_b64 s[10:11], 0
	s_mov_b64 s[12:13], -1
.LBB8_1505:
	s_andn2_b64 vcc, exec, s[10:11]
	s_mov_b64 s[10:11], 0
	s_cbranch_vccnz .LBB8_1514
; %bb.1506:
	s_cmp_gt_i32 s22, 14
	s_cbranch_scc0 .LBB8_1509
; %bb.1507:
	s_cmp_eq_u32 s22, 15
	s_cbranch_scc0 .LBB8_1510
; %bb.1508:
	global_load_ushort v2, v[6:7], off
	s_mov_b64 s[0:1], 0
	s_mov_b64 s[12:13], -1
	s_waitcnt vmcnt(0)
	v_lshlrev_b32_e32 v2, 16, v2
	v_cvt_f64_f32_e32 v[2:3], v2
	s_branch .LBB8_1511
.LBB8_1509:
	s_mov_b64 s[16:17], -1
                                        ; implicit-def: $vgpr2_vgpr3
	s_branch .LBB8_1512
.LBB8_1510:
	s_mov_b64 s[0:1], -1
                                        ; implicit-def: $vgpr2_vgpr3
.LBB8_1511:
	s_mov_b64 s[16:17], 0
.LBB8_1512:
	s_and_b64 vcc, exec, s[16:17]
	s_cbranch_vccz .LBB8_1514
; %bb.1513:
	s_cmp_lg_u32 s22, 11
	s_mov_b64 s[10:11], -1
	s_cselect_b64 s[0:1], -1, 0
.LBB8_1514:
	s_and_b64 vcc, exec, s[0:1]
	s_cbranch_vccnz .LBB8_2053
; %bb.1515:
	s_andn2_b64 vcc, exec, s[10:11]
	s_cbranch_vccnz .LBB8_1517
.LBB8_1516:
	global_load_ubyte v3, v[6:7], off
	v_mov_b32_e32 v10, 0x3ff00000
	v_mov_b32_e32 v2, 0
	s_mov_b64 s[12:13], -1
	s_waitcnt vmcnt(0)
	v_cmp_ne_u16_e32 vcc, 0, v3
	v_cndmask_b32_e32 v3, 0, v10, vcc
.LBB8_1517:
	s_mov_b64 s[0:1], 0
.LBB8_1518:
	s_and_b64 vcc, exec, s[0:1]
	s_cbranch_vccz .LBB8_1567
; %bb.1519:
	s_cmp_lt_i32 s22, 5
	s_cbranch_scc1 .LBB8_1524
; %bb.1520:
	s_cmp_lt_i32 s22, 8
	s_cbranch_scc1 .LBB8_1525
	;; [unrolled: 3-line block ×3, first 2 shown]
; %bb.1522:
	s_cmp_gt_i32 s22, 9
	s_cbranch_scc0 .LBB8_1527
; %bb.1523:
	global_load_dwordx2 v[2:3], v[6:7], off
	s_mov_b64 s[0:1], 0
	s_branch .LBB8_1528
.LBB8_1524:
	s_mov_b64 s[0:1], -1
                                        ; implicit-def: $vgpr2_vgpr3
	s_branch .LBB8_1546
.LBB8_1525:
	s_mov_b64 s[0:1], -1
                                        ; implicit-def: $vgpr2_vgpr3
	s_branch .LBB8_1534
.LBB8_1526:
	s_mov_b64 s[0:1], -1
                                        ; implicit-def: $vgpr2_vgpr3
	s_branch .LBB8_1531
.LBB8_1527:
	s_mov_b64 s[0:1], -1
                                        ; implicit-def: $vgpr2_vgpr3
.LBB8_1528:
	s_andn2_b64 vcc, exec, s[0:1]
	s_cbranch_vccnz .LBB8_1530
; %bb.1529:
	global_load_dword v2, v[6:7], off
	s_waitcnt vmcnt(0)
	v_cvt_f64_f32_e32 v[2:3], v2
.LBB8_1530:
	s_mov_b64 s[0:1], 0
.LBB8_1531:
	s_andn2_b64 vcc, exec, s[0:1]
	s_cbranch_vccnz .LBB8_1533
; %bb.1532:
	global_load_dword v2, v[6:7], off
	s_waitcnt vmcnt(0)
	v_cvt_f32_f16_e32 v2, v2
	v_cvt_f64_f32_e32 v[2:3], v2
.LBB8_1533:
	s_mov_b64 s[0:1], 0
.LBB8_1534:
	s_andn2_b64 vcc, exec, s[0:1]
	s_cbranch_vccnz .LBB8_1545
; %bb.1535:
	s_cmp_lt_i32 s22, 6
	s_cbranch_scc1 .LBB8_1538
; %bb.1536:
	s_cmp_gt_i32 s22, 6
	s_cbranch_scc0 .LBB8_1539
; %bb.1537:
	global_load_dwordx2 v[2:3], v[6:7], off
	s_mov_b64 s[0:1], 0
	s_branch .LBB8_1540
.LBB8_1538:
	s_mov_b64 s[0:1], -1
                                        ; implicit-def: $vgpr2_vgpr3
	s_branch .LBB8_1543
.LBB8_1539:
	s_mov_b64 s[0:1], -1
                                        ; implicit-def: $vgpr2_vgpr3
.LBB8_1540:
	s_andn2_b64 vcc, exec, s[0:1]
	s_cbranch_vccnz .LBB8_1542
; %bb.1541:
	global_load_dword v2, v[6:7], off
	s_waitcnt vmcnt(0)
	v_cvt_f64_f32_e32 v[2:3], v2
.LBB8_1542:
	s_mov_b64 s[0:1], 0
.LBB8_1543:
	s_andn2_b64 vcc, exec, s[0:1]
	s_cbranch_vccnz .LBB8_1545
; %bb.1544:
	global_load_ushort v2, v[6:7], off
	s_waitcnt vmcnt(0)
	v_cvt_f32_f16_e32 v2, v2
	v_cvt_f64_f32_e32 v[2:3], v2
.LBB8_1545:
	s_mov_b64 s[0:1], 0
.LBB8_1546:
	s_andn2_b64 vcc, exec, s[0:1]
	s_cbranch_vccnz .LBB8_1566
; %bb.1547:
	s_cmp_lt_i32 s22, 2
	s_cbranch_scc1 .LBB8_1551
; %bb.1548:
	s_cmp_lt_i32 s22, 3
	s_cbranch_scc1 .LBB8_1552
; %bb.1549:
	s_cmp_gt_i32 s22, 3
	s_cbranch_scc0 .LBB8_1553
; %bb.1550:
	global_load_dwordx2 v[2:3], v[6:7], off
	s_mov_b64 s[0:1], 0
	s_waitcnt vmcnt(0)
	v_cvt_f64_i32_e32 v[10:11], v3
	v_cvt_f64_u32_e32 v[2:3], v2
	v_ldexp_f64 v[10:11], v[10:11], 32
	v_add_f64 v[2:3], v[10:11], v[2:3]
	s_branch .LBB8_1554
.LBB8_1551:
	s_mov_b64 s[0:1], -1
                                        ; implicit-def: $vgpr2_vgpr3
	s_branch .LBB8_1560
.LBB8_1552:
	s_mov_b64 s[0:1], -1
                                        ; implicit-def: $vgpr2_vgpr3
	s_branch .LBB8_1557
.LBB8_1553:
	s_mov_b64 s[0:1], -1
                                        ; implicit-def: $vgpr2_vgpr3
.LBB8_1554:
	s_andn2_b64 vcc, exec, s[0:1]
	s_cbranch_vccnz .LBB8_1556
; %bb.1555:
	global_load_dword v2, v[6:7], off
	s_waitcnt vmcnt(0)
	v_cvt_f64_i32_e32 v[2:3], v2
.LBB8_1556:
	s_mov_b64 s[0:1], 0
.LBB8_1557:
	s_andn2_b64 vcc, exec, s[0:1]
	s_cbranch_vccnz .LBB8_1559
; %bb.1558:
	global_load_sshort v2, v[6:7], off
	s_waitcnt vmcnt(0)
	v_cvt_f64_i32_e32 v[2:3], v2
.LBB8_1559:
	s_mov_b64 s[0:1], 0
.LBB8_1560:
	s_andn2_b64 vcc, exec, s[0:1]
	s_cbranch_vccnz .LBB8_1566
; %bb.1561:
	s_cmp_gt_i32 s22, 0
	s_cbranch_scc0 .LBB8_1563
; %bb.1562:
	global_load_sbyte v2, v[6:7], off
	s_mov_b64 s[0:1], 0
	s_waitcnt vmcnt(0)
	v_cvt_f64_i32_e32 v[2:3], v2
	s_branch .LBB8_1564
.LBB8_1563:
	s_mov_b64 s[0:1], -1
                                        ; implicit-def: $vgpr2_vgpr3
.LBB8_1564:
	s_andn2_b64 vcc, exec, s[0:1]
	s_cbranch_vccnz .LBB8_1566
; %bb.1565:
	global_load_ubyte v2, v[6:7], off
	s_waitcnt vmcnt(0)
	v_cvt_f64_u32_e32 v[2:3], v2
.LBB8_1566:
	s_mov_b64 s[12:13], -1
.LBB8_1567:
	s_andn2_b64 vcc, exec, s[12:13]
	s_cbranch_vccnz .LBB8_1650
; %bb.1568:
	s_mov_b32 s0, 0
	s_mov_b32 s1, 0x40200000
	s_waitcnt vmcnt(0)
	v_cmp_le_f64_e64 s[0:1], |v[2:3]|, s[0:1]
                                        ; implicit-def: $vgpr12_vgpr13
	s_and_saveexec_b64 s[10:11], s[0:1]
	s_xor_b64 s[0:1], exec, s[10:11]
	s_cbranch_execz .LBB8_1570
; %bb.1569:
	v_fma_f64 v[6:7], |v[2:3]|, 0.5, -2.0
	v_mov_b32_e32 v10, 0x977da589
	v_mov_b32_e32 v11, 0x3c833362
	s_mov_b32 s11, 0xbc545cb7
	s_mov_b32 s10, 0x2134d0ef
	;; [unrolled: 1-line block ×4, first 2 shown]
	v_mov_b32_e32 v17, 0xfca7ab0c
	v_fma_f64 v[10:11], v[6:7], s[10:11], v[10:11]
	s_mov_b32 s11, 0x3c545cb7
	v_mov_b32_e32 v18, 0x3e928af3
	v_fma_f64 v[12:13], v[6:7], v[10:11], s[10:11]
	s_mov_b32 s10, 0x721ebbb4
	s_mov_b32 s11, 0xbcb184eb
	v_add_f64 v[12:13], v[12:13], s[10:11]
	s_mov_b32 s10, 0x93f65eba
	s_mov_b32 s11, 0x3cdee6d8
	v_fma_f64 v[10:11], v[6:7], v[12:13], -v[10:11]
	v_add_f64 v[10:11], v[10:11], s[10:11]
	s_mov_b32 s10, 0xc297fbeb
	s_mov_b32 s11, 0xbd0a5022
	v_fma_f64 v[12:13], v[6:7], v[10:11], -v[12:13]
	;; [unrolled: 4-line block ×20, first 2 shown]
	v_add_f64 v[12:13], v[12:13], s[10:11]
	s_mov_b32 s10, 0x652b82fe
	s_mov_b32 s11, 0x3ff71547
	v_mul_f64 v[15:16], |v[2:3]|, s[10:11]
	s_mov_b32 s10, 0xf3dde3dd
	s_mov_b32 s11, 0x3f859961
	v_fma_f64 v[10:11], v[6:7], v[12:13], -v[10:11]
	v_rndne_f64_e32 v[15:16], v[15:16]
	v_add_f64 v[10:11], v[10:11], s[10:11]
	s_mov_b32 s10, 0xfefa39ef
	s_mov_b32 s11, 0xbfe62e42
	v_fma_f64 v[2:3], v[15:16], s[10:11], |v[2:3]|
	s_mov_b32 s10, 0xf121b6f0
	s_mov_b32 s11, 0xbf984e9e
	v_fma_f64 v[12:13], v[6:7], v[10:11], -v[12:13]
	v_fma_f64 v[2:3], v[15:16], s[12:13], v[2:3]
	s_mov_b32 s12, 0x623fde64
	s_mov_b32 s13, 0x3ec71dee
	v_add_f64 v[12:13], v[12:13], s[10:11]
	s_mov_b32 s10, 0x6a5dcb37
	s_mov_b32 s11, 0x3e5ade15
	v_fma_f64 v[17:18], v[2:3], s[10:11], v[17:18]
	s_mov_b32 s10, 0xcea8a32d
	s_mov_b32 s11, 0x3fa93e8a
	v_fma_f64 v[10:11], v[6:7], v[12:13], -v[10:11]
	v_fma_f64 v[17:18], v[2:3], v[17:18], s[12:13]
	s_mov_b32 s12, 0x14761f6e
	s_mov_b32 s13, 0x3f2a01a0
	v_add_f64 v[10:11], v[10:11], s[10:11]
	s_mov_b32 s10, 0x7c89e6b0
	s_mov_b32 s11, 0x3efa0199
	v_fma_f64 v[17:18], v[2:3], v[17:18], s[10:11]
	;; [unrolled: 10-line block ×4, first 2 shown]
	s_mov_b32 s10, 0xc057cd8d
	s_mov_b32 s11, 0xbfd37feb
	v_fma_f64 v[12:13], v[6:7], v[10:11], -v[12:13]
	v_fma_f64 v[17:18], v[2:3], v[17:18], s[12:13]
	v_add_f64 v[12:13], v[12:13], s[10:11]
	s_mov_b32 s10, 11
	s_mov_b32 s11, 0x3fe00000
	v_fma_f64 v[17:18], v[2:3], v[17:18], s[10:11]
	s_mov_b32 s10, 0x9035a22a
	s_mov_b32 s11, 0x3fe5a84e
	v_fma_f64 v[6:7], v[6:7], v[12:13], -v[10:11]
	v_fma_f64 v[12:13], v[2:3], v[17:18], 1.0
	v_add_f64 v[6:7], v[6:7], s[10:11]
	v_fma_f64 v[2:3], v[2:3], v[12:13], 1.0
	v_add_f64 v[6:7], v[6:7], -v[10:11]
	v_cvt_i32_f64_e32 v10, v[15:16]
	v_ldexp_f64 v[2:3], v[2:3], v10
	v_mul_f64 v[6:7], v[6:7], 0.5
	v_mul_f64 v[12:13], v[2:3], v[6:7]
                                        ; implicit-def: $vgpr2_vgpr3
.LBB8_1570:
	s_andn2_saveexec_b64 s[10:11], s[0:1]
	s_cbranch_execz .LBB8_1572
; %bb.1571:
	s_mov_b32 s0, 0
	v_and_b32_e32 v7, 0x7fffffff, v3
	v_mov_b32_e32 v6, v2
	s_mov_b32 s1, 0x40400000
	v_div_scale_f64 v[10:11], s[12:13], v[6:7], v[6:7], s[0:1]
	v_div_scale_f64 v[6:7], vcc, s[0:1], v[6:7], s[0:1]
	s_mov_b32 s12, 0x3b39803f
	s_mov_b32 s13, 0xbc7abc9e
	v_mov_b32_e32 v19, 0xfca7ab0c
	v_mov_b32_e32 v20, 0x3e928af3
	s_mov_b32 s16, 0x623fde64
	s_mov_b32 s17, 0x3ec71dee
	v_mov_b32_e32 v21, 0x100
	v_rcp_f64_e32 v[12:13], v[10:11]
	v_fma_f64 v[15:16], -v[10:11], v[12:13], 1.0
	v_fma_f64 v[12:13], v[12:13], v[15:16], v[12:13]
	v_fma_f64 v[15:16], -v[10:11], v[12:13], 1.0
	v_fma_f64 v[12:13], v[12:13], v[15:16], v[12:13]
	v_mul_f64 v[15:16], v[6:7], v[12:13]
	v_fma_f64 v[6:7], -v[10:11], v[15:16], v[6:7]
	v_mov_b32_e32 v10, 0x66119130
	v_mov_b32_e32 v11, 0xbc5646da
	v_div_fmas_f64 v[6:7], v[6:7], v[12:13], v[15:16]
	v_div_fixup_f64 v[6:7], v[6:7], |v[2:3]|, s[0:1]
	s_mov_b32 s1, 0xbc60adb7
	s_mov_b32 s0, 0x54ca8b19
	v_add_f64 v[6:7], v[6:7], -2.0
	v_fma_f64 v[10:11], v[6:7], s[0:1], v[10:11]
	s_mov_b32 s1, 0x3c60adb7
	v_fma_f64 v[12:13], v[6:7], v[10:11], s[0:1]
	s_mov_b32 s0, 0x12d98421
	s_mov_b32 s1, 0x3c89be18
	v_add_f64 v[12:13], v[12:13], s[0:1]
	s_mov_b32 s0, 0x76041cd
	s_mov_b32 s1, 0x3c83f3dd
	v_fma_f64 v[10:11], v[6:7], v[12:13], -v[10:11]
	v_add_f64 v[10:11], v[10:11], s[0:1]
	s_mov_b32 s0, 0xabd21fe4
	s_mov_b32 s1, 0xbcb4600b
	v_fma_f64 v[12:13], v[6:7], v[10:11], -v[12:13]
	;; [unrolled: 4-line block ×15, first 2 shown]
	v_add_f64 v[10:11], v[10:11], s[0:1]
	s_mov_b32 s0, 0x652b82fe
	s_mov_b32 s1, 0x3ff71547
	v_mul_f64 v[15:16], |v[2:3]|, s[0:1]
	s_mov_b32 s0, 0xa9225b87
	s_mov_b32 s1, 0x3e2d2c64
	v_fma_f64 v[12:13], v[6:7], v[10:11], -v[12:13]
	v_rndne_f64_e32 v[15:16], v[15:16]
	v_add_f64 v[12:13], v[12:13], s[0:1]
	s_mov_b32 s0, 0xfefa39ef
	s_mov_b32 s1, 0xbfe62e42
	v_fma_f64 v[17:18], v[15:16], s[0:1], |v[2:3]|
	s_mov_b32 s0, 0x80d6d56d
	s_mov_b32 s1, 0x3e585692
	v_fma_f64 v[10:11], v[6:7], v[12:13], -v[10:11]
	v_fma_f64 v[17:18], v[15:16], s[12:13], v[17:18]
	s_mov_b32 s12, 0xd9cd616e
	s_mov_b32 s13, 0x3e8b8007
	v_add_f64 v[10:11], v[10:11], s[0:1]
	s_mov_b32 s0, 0x6a5dcb37
	s_mov_b32 s1, 0x3e5ade15
	v_fma_f64 v[19:20], v[17:18], s[0:1], v[19:20]
	s_mov_b32 s0, 0
	s_brev_b32 s1, 8
	v_cmp_lt_f64_e64 vcc, |v[2:3]|, s[0:1]
	s_mov_b32 s0, 0x7c89e6b0
	v_fma_f64 v[12:13], v[6:7], v[10:11], -v[12:13]
	s_mov_b32 s1, 0x3efa0199
	v_fma_f64 v[19:20], v[17:18], v[19:20], s[16:17]
	v_cndmask_b32_e32 v21, 0, v21, vcc
	v_ldexp_f64 v[21:22], |v[2:3]|, v21
	v_add_f64 v[12:13], v[12:13], s[12:13]
	s_mov_b32 s12, 0x14761f6e
	s_mov_b32 s13, 0x3f2a01a0
	v_fma_f64 v[19:20], v[17:18], v[19:20], s[0:1]
	s_mov_b32 s0, 0xc101c586
	s_mov_b32 s1, 0x3ec8412b
	v_rsq_f64_e32 v[23:24], v[21:22]
	v_fma_f64 v[10:11], v[6:7], v[12:13], -v[10:11]
	v_fma_f64 v[19:20], v[17:18], v[19:20], s[12:13]
	s_mov_b32 s12, 0x11122322
	s_mov_b32 s13, 0x3f811111
	v_add_f64 v[10:11], v[10:11], s[0:1]
	s_mov_b32 s0, 0x1852b7b0
	s_mov_b32 s1, 0x3f56c16c
	v_fma_f64 v[19:20], v[17:18], v[19:20], s[0:1]
	s_mov_b32 s0, 0x78999e52
	s_mov_b32 s1, 0x3f120fa3
	v_mul_f64 v[25:26], v[21:22], v[23:24]
	v_fma_f64 v[12:13], v[6:7], v[10:11], -v[12:13]
	v_mul_f64 v[23:24], v[23:24], 0.5
	v_fma_f64 v[19:20], v[17:18], v[19:20], s[12:13]
	s_mov_b32 s12, 0x55555511
	s_mov_b32 s13, 0x3fc55555
	v_add_f64 v[12:13], v[12:13], s[0:1]
	s_mov_b32 s0, 0x555502a1
	s_mov_b32 s1, 0x3fa55555
	v_fma_f64 v[27:28], -v[23:24], v[25:26], 0.5
	v_fma_f64 v[19:20], v[17:18], v[19:20], s[0:1]
	s_mov_b32 s0, 0xa2e59049
	s_mov_b32 s1, 0x3f6b998c
	v_fma_f64 v[10:11], v[6:7], v[12:13], -v[10:11]
	v_fma_f64 v[25:26], v[25:26], v[27:28], v[25:26]
	v_fma_f64 v[19:20], v[17:18], v[19:20], s[12:13]
	;; [unrolled: 1-line block ×3, first 2 shown]
	v_add_f64 v[10:11], v[10:11], s[0:1]
	s_mov_b32 s0, 11
	s_mov_b32 s1, 0x3fe00000
	v_fma_f64 v[27:28], -v[25:26], v[25:26], v[21:22]
	v_fma_f64 v[19:20], v[17:18], v[19:20], s[0:1]
	s_mov_b32 s0, 0xaca809cb
	s_mov_b32 s1, 0x3fe9be62
	v_fma_f64 v[6:7], v[6:7], v[10:11], -v[12:13]
	v_fma_f64 v[10:11], v[27:28], v[23:24], v[25:26]
	v_fma_f64 v[19:20], v[17:18], v[19:20], 1.0
	v_add_f64 v[6:7], v[6:7], s[0:1]
	s_mov_b32 s0, 0
	s_mov_b32 s1, 0x40900000
	v_fma_f64 v[25:26], -v[10:11], v[10:11], v[21:22]
	v_fma_f64 v[17:18], v[17:18], v[19:20], 1.0
	v_cmp_ngt_f64_e64 s[0:1], |v[2:3]|, s[0:1]
	v_add_f64 v[6:7], v[6:7], -v[12:13]
	v_cvt_i32_f64_e32 v12, v[15:16]
	v_mov_b32_e32 v15, 0x7ff00000
	v_fma_f64 v[10:11], v[25:26], v[23:24], v[10:11]
	v_mov_b32_e32 v16, 0x260
	v_ldexp_f64 v[12:13], v[17:18], v12
	v_mul_f64 v[2:3], v[6:7], 0.5
	v_mov_b32_e32 v6, 0xffffff80
	v_cndmask_b32_e32 v6, 0, v6, vcc
	v_ldexp_f64 v[6:7], v[10:11], v6
	v_cmp_class_f64_e32 vcc, v[21:22], v16
	v_cndmask_b32_e64 v11, v15, v13, s[0:1]
	v_cndmask_b32_e64 v10, 0, v12, s[0:1]
	v_mul_f64 v[2:3], v[10:11], v[2:3]
	v_cndmask_b32_e32 v7, v7, v22, vcc
	v_cndmask_b32_e32 v6, v6, v21, vcc
	v_div_scale_f64 v[10:11], s[0:1], v[6:7], v[6:7], v[2:3]
	v_div_scale_f64 v[17:18], vcc, v[2:3], v[6:7], v[2:3]
	v_rcp_f64_e32 v[12:13], v[10:11]
	v_fma_f64 v[15:16], -v[10:11], v[12:13], 1.0
	v_fma_f64 v[12:13], v[12:13], v[15:16], v[12:13]
	v_fma_f64 v[15:16], -v[10:11], v[12:13], 1.0
	v_fma_f64 v[12:13], v[12:13], v[15:16], v[12:13]
	v_mul_f64 v[15:16], v[17:18], v[12:13]
	v_fma_f64 v[10:11], -v[10:11], v[15:16], v[17:18]
	v_div_fmas_f64 v[10:11], v[10:11], v[12:13], v[15:16]
	v_div_fixup_f64 v[12:13], v[10:11], v[6:7], v[2:3]
.LBB8_1572:
	s_or_b64 exec, exec, s[10:11]
	v_mul_lo_u32 v10, s2, v14
	v_mov_b32_e32 v2, s9
	s_and_b32 s20, s33, 0xff
	s_cmp_lt_i32 s20, 11
	v_ashrrev_i32_e32 v3, 31, v10
	v_add_co_u32_e32 v6, vcc, s8, v10
	v_addc_co_u32_e32 v7, vcc, v2, v3, vcc
	s_cbranch_scc1 .LBB8_1696
; %bb.1573:
	s_and_b32 s3, 0xffff, s20
	s_mov_b64 s[16:17], -1
	s_mov_b64 s[10:11], 0
	s_cmp_gt_i32 s3, 25
	s_mov_b64 s[12:13], 0
	s_mov_b64 s[0:1], 0
	s_cbranch_scc0 .LBB8_1606
; %bb.1574:
	s_cmp_gt_i32 s3, 28
	s_cbranch_scc0 .LBB8_1589
; %bb.1575:
	s_cmp_gt_i32 s3, 43
	;; [unrolled: 3-line block ×3, first 2 shown]
	s_cbranch_scc0 .LBB8_1579
; %bb.1577:
	s_mov_b64 s[0:1], -1
	s_mov_b64 s[16:17], 0
	s_cmp_eq_u32 s3, 46
	s_cbranch_scc0 .LBB8_1579
; %bb.1578:
	v_cvt_f32_f64_e32 v2, v[0:1]
	s_movk_i32 s0, 0x7fff
	v_mov_b32_e32 v3, 0x7fc0
	s_mov_b64 s[12:13], -1
	v_bfe_u32 v11, v2, 16, 1
	v_cmp_o_f32_e32 vcc, v2, v2
	v_add3_u32 v2, v2, v11, s0
	v_cndmask_b32_sdwa v2, v3, v2, vcc dst_sel:DWORD dst_unused:UNUSED_PAD src0_sel:DWORD src1_sel:WORD_1
	global_store_dword v[6:7], v2, off
	s_mov_b64 s[0:1], 0
.LBB8_1579:
	s_and_b64 vcc, exec, s[16:17]
	s_cbranch_vccz .LBB8_1584
; %bb.1580:
	s_cmp_eq_u32 s3, 44
	s_mov_b64 s[0:1], -1
	s_cbranch_scc0 .LBB8_1584
; %bb.1581:
	v_cvt_f32_f64_e32 v2, v[0:1]
	s_movk_i32 s0, 0xff
	v_mov_b32_e32 v11, 0xff
	v_bfe_u32 v3, v2, 23, 8
	v_cmp_ne_u32_e32 vcc, s0, v3
	s_and_saveexec_b64 s[12:13], vcc
; %bb.1582:
	s_mov_b32 s0, 0x3fffff
	v_lshrrev_b32_e32 v11, 23, v2
	v_and_b32_e32 v14, 0x400000, v2
	v_and_or_b32 v2, v2, s0, v3
	v_cmp_ne_u32_e32 vcc, 0, v14
	v_cmp_ne_u32_e64 s[0:1], 0, v2
	s_and_b64 s[0:1], vcc, s[0:1]
	v_cndmask_b32_e64 v2, 0, 1, s[0:1]
	v_add_u32_e32 v11, v11, v2
; %bb.1583:
	s_or_b64 exec, exec, s[12:13]
	s_mov_b64 s[0:1], 0
	s_mov_b64 s[12:13], -1
	global_store_byte v[6:7], v11, off
.LBB8_1584:
	s_mov_b64 s[16:17], 0
.LBB8_1585:
	s_and_b64 vcc, exec, s[16:17]
	s_cbranch_vccz .LBB8_1588
; %bb.1586:
	s_cmp_eq_u32 s3, 29
	s_mov_b64 s[0:1], -1
	s_cbranch_scc0 .LBB8_1588
; %bb.1587:
	v_trunc_f64_e32 v[2:3], v[0:1]
	s_movk_i32 s0, 0xffe0
	s_mov_b64 s[12:13], -1
	v_ldexp_f64 v[14:15], v[2:3], s0
	s_mov_b32 s0, 0
	s_mov_b32 s1, 0xc1f00000
	v_floor_f64_e32 v[14:15], v[14:15]
	v_fma_f64 v[2:3], v[14:15], s[0:1], v[2:3]
	v_cvt_u32_f64_e32 v15, v[14:15]
	s_mov_b64 s[0:1], 0
	v_cvt_u32_f64_e32 v14, v[2:3]
	global_store_dwordx2 v[6:7], v[14:15], off
.LBB8_1588:
	s_mov_b64 s[16:17], 0
.LBB8_1589:
	s_and_b64 vcc, exec, s[16:17]
	s_cbranch_vccz .LBB8_1605
; %bb.1590:
	s_cmp_lt_i32 s3, 27
	s_mov_b64 s[12:13], -1
	s_cbranch_scc1 .LBB8_1596
; %bb.1591:
	v_cvt_u32_f64_e32 v2, v[0:1]
	s_cmp_gt_i32 s3, 27
	s_cbranch_scc0 .LBB8_1593
; %bb.1592:
	s_mov_b64 s[12:13], 0
	global_store_dword v[6:7], v2, off
.LBB8_1593:
	s_andn2_b64 vcc, exec, s[12:13]
	s_cbranch_vccnz .LBB8_1595
; %bb.1594:
	global_store_short v[6:7], v2, off
.LBB8_1595:
	s_mov_b64 s[12:13], 0
.LBB8_1596:
	s_andn2_b64 vcc, exec, s[12:13]
	s_cbranch_vccnz .LBB8_1604
; %bb.1597:
	v_cvt_f32_f64_e32 v2, v[0:1]
	s_mov_b32 s12, 0x43800000
	v_mov_b32_e32 v11, 0x80
	v_and_b32_e32 v3, 0x7fffffff, v2
	v_cmp_gt_u32_e32 vcc, s12, v3
	s_and_saveexec_b64 s[12:13], vcc
	s_cbranch_execz .LBB8_1603
; %bb.1598:
	s_mov_b32 s16, 0x3bffffff
	v_cmp_lt_u32_e32 vcc, s16, v3
	s_mov_b64 s[16:17], 0
                                        ; implicit-def: $vgpr3
	s_and_saveexec_b64 s[18:19], vcc
	s_xor_b64 s[18:19], exec, s[18:19]
	s_cbranch_execz .LBB8_2054
; %bb.1599:
	v_bfe_u32 v3, v2, 20, 1
	s_mov_b32 s21, 0x487ffff
	v_add3_u32 v3, v2, v3, s21
	s_mov_b64 s[16:17], exec
	v_lshrrev_b32_e32 v3, 20, v3
	s_andn2_saveexec_b64 s[18:19], s[18:19]
	s_cbranch_execnz .LBB8_2055
.LBB8_1600:
	s_or_b64 exec, exec, s[18:19]
	v_mov_b32_e32 v11, 0
	s_and_saveexec_b64 s[18:19], s[16:17]
.LBB8_1601:
	v_lshrrev_b32_e32 v2, 24, v2
	s_movk_i32 s16, 0x80
	v_and_or_b32 v11, v2, s16, v3
.LBB8_1602:
	s_or_b64 exec, exec, s[18:19]
.LBB8_1603:
	s_or_b64 exec, exec, s[12:13]
	global_store_byte v[6:7], v11, off
.LBB8_1604:
	s_mov_b64 s[12:13], -1
.LBB8_1605:
	s_mov_b64 s[16:17], 0
.LBB8_1606:
	s_and_b64 vcc, exec, s[16:17]
	s_cbranch_vccz .LBB8_1646
; %bb.1607:
	s_cmp_gt_i32 s3, 22
	s_mov_b64 s[10:11], -1
	s_cbranch_scc0 .LBB8_1639
; %bb.1608:
	s_cmp_lt_i32 s3, 24
	s_cbranch_scc1 .LBB8_1628
; %bb.1609:
	s_cmp_gt_i32 s3, 24
	s_cbranch_scc0 .LBB8_1617
; %bb.1610:
	v_cvt_f32_f64_e32 v2, v[0:1]
	s_mov_b32 s10, 0x47800000
	v_mov_b32_e32 v11, 0x80
	v_and_b32_e32 v3, 0x7fffffff, v2
	v_cmp_gt_u32_e32 vcc, s10, v3
	s_and_saveexec_b64 s[10:11], vcc
	s_cbranch_execz .LBB8_1616
; %bb.1611:
	s_mov_b32 s12, 0x37ffffff
	v_cmp_lt_u32_e32 vcc, s12, v3
	s_mov_b64 s[12:13], 0
                                        ; implicit-def: $vgpr3
	s_and_saveexec_b64 s[16:17], vcc
	s_xor_b64 s[16:17], exec, s[16:17]
	s_cbranch_execz .LBB8_2057
; %bb.1612:
	v_bfe_u32 v3, v2, 21, 1
	s_mov_b32 s18, 0x88fffff
	v_add3_u32 v3, v2, v3, s18
	s_mov_b64 s[12:13], exec
	v_lshrrev_b32_e32 v3, 21, v3
	s_andn2_saveexec_b64 s[16:17], s[16:17]
	s_cbranch_execnz .LBB8_2058
.LBB8_1613:
	s_or_b64 exec, exec, s[16:17]
	v_mov_b32_e32 v11, 0
	s_and_saveexec_b64 s[16:17], s[12:13]
.LBB8_1614:
	v_lshrrev_b32_e32 v2, 24, v2
	s_movk_i32 s12, 0x80
	v_and_or_b32 v11, v2, s12, v3
.LBB8_1615:
	s_or_b64 exec, exec, s[16:17]
.LBB8_1616:
	s_or_b64 exec, exec, s[10:11]
	s_mov_b64 s[10:11], 0
	global_store_byte v[6:7], v11, off
.LBB8_1617:
	s_and_b64 vcc, exec, s[10:11]
	s_cbranch_vccz .LBB8_1627
; %bb.1618:
	v_cvt_f32_f64_e32 v2, v[0:1]
	s_mov_b32 s10, 0x43f00000
                                        ; implicit-def: $vgpr3
	v_and_b32_e32 v11, 0x7fffffff, v2
	v_cmp_gt_u32_e32 vcc, s10, v11
	s_and_saveexec_b64 s[10:11], vcc
	s_xor_b64 s[10:11], exec, s[10:11]
	s_cbranch_execz .LBB8_1624
; %bb.1619:
	s_mov_b32 s12, 0x3c7fffff
	v_cmp_lt_u32_e32 vcc, s12, v11
                                        ; implicit-def: $vgpr3
	s_and_saveexec_b64 s[12:13], vcc
	s_xor_b64 s[12:13], exec, s[12:13]
; %bb.1620:
	v_bfe_u32 v3, v2, 20, 1
	s_mov_b32 s16, 0x407ffff
	v_add3_u32 v3, v2, v3, s16
	v_lshrrev_b32_e32 v11, 20, v3
	v_and_b32_e32 v3, 0xff00000, v3
	s_mov_b32 s16, 0x7f00000
	v_mov_b32_e32 v14, 0x7e
	v_cmp_ne_u32_e32 vcc, s16, v3
	v_cndmask_b32_e32 v3, v14, v11, vcc
; %bb.1621:
	s_andn2_saveexec_b64 s[12:13], s[12:13]
; %bb.1622:
	s_mov_b32 s16, 0x46800000
	v_add_f32_e64 v3, |v2|, s16
; %bb.1623:
	s_or_b64 exec, exec, s[12:13]
                                        ; implicit-def: $vgpr11
.LBB8_1624:
	s_andn2_saveexec_b64 s[10:11], s[10:11]
; %bb.1625:
	s_mov_b32 s12, 0x7f800000
	v_mov_b32_e32 v3, 0x7e
	v_mov_b32_e32 v14, 0x7f
	v_cmp_lt_u32_e32 vcc, s12, v11
	v_cndmask_b32_e32 v3, v3, v14, vcc
; %bb.1626:
	s_or_b64 exec, exec, s[10:11]
	v_lshrrev_b32_e32 v2, 24, v2
	s_movk_i32 s10, 0x80
	v_and_or_b32 v2, v2, s10, v3
	global_store_byte v[6:7], v2, off
.LBB8_1627:
	s_mov_b64 s[10:11], 0
.LBB8_1628:
	s_andn2_b64 vcc, exec, s[10:11]
	s_cbranch_vccnz .LBB8_1638
; %bb.1629:
	v_cvt_f32_f64_e32 v2, v[0:1]
	s_mov_b32 s10, 0x47800000
                                        ; implicit-def: $vgpr3
	v_and_b32_e32 v11, 0x7fffffff, v2
	v_cmp_gt_u32_e32 vcc, s10, v11
	s_and_saveexec_b64 s[10:11], vcc
	s_xor_b64 s[10:11], exec, s[10:11]
	s_cbranch_execz .LBB8_1635
; %bb.1630:
	s_mov_b32 s12, 0x387fffff
	v_cmp_lt_u32_e32 vcc, s12, v11
                                        ; implicit-def: $vgpr3
	s_and_saveexec_b64 s[12:13], vcc
	s_xor_b64 s[12:13], exec, s[12:13]
; %bb.1631:
	v_bfe_u32 v3, v2, 21, 1
	s_mov_b32 s16, 0x80fffff
	v_add3_u32 v3, v2, v3, s16
	v_lshrrev_b32_e32 v3, 21, v3
; %bb.1632:
	s_andn2_saveexec_b64 s[12:13], s[12:13]
; %bb.1633:
	s_mov_b32 s16, 0x43000000
	v_add_f32_e64 v3, |v2|, s16
; %bb.1634:
	s_or_b64 exec, exec, s[12:13]
                                        ; implicit-def: $vgpr11
.LBB8_1635:
	s_andn2_saveexec_b64 s[10:11], s[10:11]
; %bb.1636:
	s_mov_b32 s12, 0x7f800000
	v_mov_b32_e32 v3, 0x7c
	v_mov_b32_e32 v14, 0x7f
	v_cmp_lt_u32_e32 vcc, s12, v11
	v_cndmask_b32_e32 v3, v3, v14, vcc
; %bb.1637:
	s_or_b64 exec, exec, s[10:11]
	v_lshrrev_b32_e32 v2, 24, v2
	s_movk_i32 s10, 0x80
	v_and_or_b32 v2, v2, s10, v3
	global_store_byte v[6:7], v2, off
.LBB8_1638:
	s_mov_b64 s[10:11], 0
	s_mov_b64 s[12:13], -1
.LBB8_1639:
	s_andn2_b64 vcc, exec, s[10:11]
	s_mov_b64 s[10:11], 0
	s_cbranch_vccnz .LBB8_1646
; %bb.1640:
	s_cmp_gt_i32 s3, 14
	s_mov_b64 s[16:17], -1
	s_cbranch_scc0 .LBB8_1644
; %bb.1641:
	s_cmp_eq_u32 s3, 15
	s_mov_b64 s[0:1], -1
	s_cbranch_scc0 .LBB8_1643
; %bb.1642:
	v_cvt_f32_f64_e32 v2, v[0:1]
	s_movk_i32 s0, 0x7fff
	v_mov_b32_e32 v3, 0x7fc0
	s_mov_b64 s[12:13], -1
	v_bfe_u32 v11, v2, 16, 1
	v_cmp_o_f32_e32 vcc, v2, v2
	v_add3_u32 v2, v2, v11, s0
	v_cndmask_b32_sdwa v2, v3, v2, vcc dst_sel:DWORD dst_unused:UNUSED_PAD src0_sel:DWORD src1_sel:WORD_1
	global_store_short v[6:7], v2, off
	s_mov_b64 s[0:1], 0
.LBB8_1643:
	s_mov_b64 s[16:17], 0
.LBB8_1644:
	s_and_b64 vcc, exec, s[16:17]
	s_cbranch_vccz .LBB8_1646
; %bb.1645:
	s_cmp_lg_u32 s3, 11
	s_mov_b64 s[10:11], -1
	s_cselect_b64 s[0:1], -1, 0
.LBB8_1646:
	s_and_b64 vcc, exec, s[0:1]
	s_cbranch_vccnz .LBB8_2056
; %bb.1647:
	s_andn2_b64 vcc, exec, s[10:11]
	s_cbranch_vccnz .LBB8_1649
.LBB8_1648:
	v_cmp_neq_f64_e32 vcc, 0, v[0:1]
	s_mov_b64 s[12:13], -1
	v_cndmask_b32_e64 v2, 0, 1, vcc
	global_store_byte v[6:7], v2, off
.LBB8_1649:
	s_mov_b64 s[0:1], 0
	s_branch .LBB8_1697
.LBB8_1650:
	s_mov_b64 s[0:1], 0
                                        ; implicit-def: $sgpr20
                                        ; implicit-def: $vgpr0_vgpr1
                                        ; implicit-def: $vgpr12_vgpr13
.LBB8_1651:
	s_mov_b64 s[2:3], 0
.LBB8_1652:
	s_and_b64 s[12:13], s[2:3], exec
	s_andn2_b64 s[2:3], s[6:7], exec
	s_and_b64 s[6:7], s[14:15], exec
	s_and_b64 s[0:1], s[0:1], exec
	s_or_b64 s[6:7], s[2:3], s[6:7]
.LBB8_1653:
	s_or_b64 exec, exec, s[4:5]
	s_and_saveexec_b64 s[2:3], s[6:7]
	s_cbranch_execz .LBB8_1656
; %bb.1654:
	; divergent unreachable
	s_or_b64 exec, exec, s[2:3]
	s_and_saveexec_b64 s[2:3], s[12:13]
	s_xor_b64 s[2:3], exec, s[2:3]
	s_cbranch_execnz .LBB8_1657
.LBB8_1655:
	s_or_b64 exec, exec, s[2:3]
	s_and_saveexec_b64 s[2:3], s[0:1]
	s_cbranch_execnz .LBB8_1658
	s_branch .LBB8_1695
.LBB8_1656:
	s_or_b64 exec, exec, s[2:3]
	s_and_saveexec_b64 s[2:3], s[12:13]
	s_xor_b64 s[2:3], exec, s[2:3]
	s_cbranch_execz .LBB8_1655
.LBB8_1657:
	v_cmp_neq_f64_e32 vcc, 0, v[12:13]
	s_waitcnt vmcnt(0)
	v_cndmask_b32_e64 v2, 0, 1, vcc
	global_store_byte v[0:1], v2, off
	s_or_b64 exec, exec, s[2:3]
	s_and_saveexec_b64 s[2:3], s[0:1]
	s_cbranch_execz .LBB8_1695
.LBB8_1658:
	s_sext_i32_i16 s2, s20
	s_cmp_lt_i32 s2, 5
	s_mov_b64 s[0:1], -1
	s_cbranch_scc1 .LBB8_1679
; %bb.1659:
	s_cmp_lt_i32 s2, 8
	s_cbranch_scc1 .LBB8_1669
; %bb.1660:
	s_cmp_lt_i32 s2, 9
	s_cbranch_scc1 .LBB8_1666
; %bb.1661:
	s_cmp_gt_i32 s2, 9
	s_cbranch_scc0 .LBB8_1663
; %bb.1662:
	v_mov_b32_e32 v14, 0
	v_mov_b32_e32 v15, v14
	global_store_dwordx4 v[0:1], v[12:15], off
	s_mov_b64 s[0:1], 0
.LBB8_1663:
	s_andn2_b64 vcc, exec, s[0:1]
	s_cbranch_vccnz .LBB8_1665
; %bb.1664:
	s_waitcnt vmcnt(0)
	v_cvt_f32_f64_e32 v2, v[12:13]
	v_mov_b32_e32 v3, 0
	global_store_dwordx2 v[0:1], v[2:3], off
.LBB8_1665:
	s_mov_b64 s[0:1], 0
.LBB8_1666:
	s_andn2_b64 vcc, exec, s[0:1]
	s_cbranch_vccnz .LBB8_1668
; %bb.1667:
	s_movk_i32 s0, 0x1ff
	s_waitcnt vmcnt(0)
	v_and_or_b32 v2, v13, s0, v12
	v_cmp_ne_u32_e32 vcc, 0, v2
	v_cndmask_b32_e64 v2, 0, 1, vcc
	v_lshrrev_b32_e32 v3, 8, v13
	s_movk_i32 s0, 0xffe
	v_bfe_u32 v4, v13, 20, 11
	v_and_or_b32 v2, v3, s0, v2
	v_sub_u32_e32 v5, 0x3f1, v4
	v_or_b32_e32 v3, 0x1000, v2
	v_med3_i32 v5, v5, 0, 13
	v_lshrrev_b32_e32 v6, v5, v3
	v_lshlrev_b32_e32 v5, v5, v6
	v_cmp_ne_u32_e32 vcc, v5, v3
	v_cndmask_b32_e64 v3, 0, 1, vcc
	v_add_u32_e32 v4, 0xfffffc10, v4
	v_or_b32_e32 v3, v6, v3
	v_lshl_or_b32 v5, v4, 12, v2
	v_cmp_gt_i32_e32 vcc, 1, v4
	v_cndmask_b32_e32 v3, v5, v3, vcc
	v_and_b32_e32 v5, 7, v3
	v_cmp_lt_i32_e32 vcc, 5, v5
	v_cndmask_b32_e64 v6, 0, 1, vcc
	v_cmp_eq_u32_e32 vcc, 3, v5
	v_cndmask_b32_e64 v5, 0, 1, vcc
	v_or_b32_e32 v5, v5, v6
	v_lshrrev_b32_e32 v3, 2, v3
	v_add_u32_e32 v3, v3, v5
	v_mov_b32_e32 v5, 0x7c00
	v_cmp_gt_i32_e32 vcc, 31, v4
	v_cndmask_b32_e32 v3, v5, v3, vcc
	v_mov_b32_e32 v6, 0x7e00
	v_cmp_ne_u32_e32 vcc, 0, v2
	s_movk_i32 s0, 0x40f
	v_cndmask_b32_e32 v2, v5, v6, vcc
	v_cmp_eq_u32_e32 vcc, s0, v4
	v_cndmask_b32_e32 v2, v3, v2, vcc
	v_lshrrev_b32_e32 v3, 16, v13
	s_mov_b32 s0, 0x8000
	v_and_or_b32 v2, v3, s0, v2
	v_and_b32_e32 v2, 0xffff, v2
	global_store_dword v[0:1], v2, off
.LBB8_1668:
	s_mov_b64 s[0:1], 0
.LBB8_1669:
	s_andn2_b64 vcc, exec, s[0:1]
	s_cbranch_vccnz .LBB8_1678
; %bb.1670:
	s_sext_i32_i16 s2, s20
	s_cmp_lt_i32 s2, 6
	s_mov_b64 s[0:1], -1
	s_cbranch_scc1 .LBB8_1676
; %bb.1671:
	s_cmp_gt_i32 s2, 6
	s_cbranch_scc0 .LBB8_1673
; %bb.1672:
	global_store_dwordx2 v[0:1], v[12:13], off
	s_mov_b64 s[0:1], 0
.LBB8_1673:
	s_andn2_b64 vcc, exec, s[0:1]
	s_cbranch_vccnz .LBB8_1675
; %bb.1674:
	s_waitcnt vmcnt(0)
	v_cvt_f32_f64_e32 v2, v[12:13]
	global_store_dword v[0:1], v2, off
.LBB8_1675:
	s_mov_b64 s[0:1], 0
.LBB8_1676:
	s_andn2_b64 vcc, exec, s[0:1]
	s_cbranch_vccnz .LBB8_1678
; %bb.1677:
	s_movk_i32 s0, 0x1ff
	s_waitcnt vmcnt(0)
	v_and_or_b32 v2, v13, s0, v12
	v_cmp_ne_u32_e32 vcc, 0, v2
	v_cndmask_b32_e64 v2, 0, 1, vcc
	v_lshrrev_b32_e32 v3, 8, v13
	s_movk_i32 s0, 0xffe
	v_bfe_u32 v4, v13, 20, 11
	v_and_or_b32 v2, v3, s0, v2
	v_sub_u32_e32 v5, 0x3f1, v4
	v_or_b32_e32 v3, 0x1000, v2
	v_med3_i32 v5, v5, 0, 13
	v_lshrrev_b32_e32 v6, v5, v3
	v_lshlrev_b32_e32 v5, v5, v6
	v_cmp_ne_u32_e32 vcc, v5, v3
	v_cndmask_b32_e64 v3, 0, 1, vcc
	v_add_u32_e32 v4, 0xfffffc10, v4
	v_or_b32_e32 v3, v6, v3
	v_lshl_or_b32 v5, v4, 12, v2
	v_cmp_gt_i32_e32 vcc, 1, v4
	v_cndmask_b32_e32 v3, v5, v3, vcc
	v_and_b32_e32 v5, 7, v3
	v_cmp_lt_i32_e32 vcc, 5, v5
	v_cndmask_b32_e64 v6, 0, 1, vcc
	v_cmp_eq_u32_e32 vcc, 3, v5
	v_cndmask_b32_e64 v5, 0, 1, vcc
	v_or_b32_e32 v5, v5, v6
	v_lshrrev_b32_e32 v3, 2, v3
	v_add_u32_e32 v3, v3, v5
	v_mov_b32_e32 v5, 0x7c00
	v_cmp_gt_i32_e32 vcc, 31, v4
	v_cndmask_b32_e32 v3, v5, v3, vcc
	v_mov_b32_e32 v6, 0x7e00
	v_cmp_ne_u32_e32 vcc, 0, v2
	s_movk_i32 s0, 0x40f
	v_cndmask_b32_e32 v2, v5, v6, vcc
	v_cmp_eq_u32_e32 vcc, s0, v4
	v_cndmask_b32_e32 v2, v3, v2, vcc
	v_lshrrev_b32_e32 v3, 16, v13
	s_mov_b32 s0, 0x8000
	v_and_or_b32 v2, v3, s0, v2
	global_store_short v[0:1], v2, off
.LBB8_1678:
	s_mov_b64 s[0:1], 0
.LBB8_1679:
	s_andn2_b64 vcc, exec, s[0:1]
	s_cbranch_vccnz .LBB8_1695
; %bb.1680:
	s_sext_i32_i16 s2, s20
	s_cmp_lt_i32 s2, 2
	s_mov_b64 s[0:1], -1
	s_cbranch_scc1 .LBB8_1690
; %bb.1681:
	s_cmp_lt_i32 s2, 3
	s_cbranch_scc1 .LBB8_1687
; %bb.1682:
	s_cmp_gt_i32 s2, 3
	s_cbranch_scc0 .LBB8_1684
; %bb.1683:
	s_waitcnt vmcnt(0)
	v_trunc_f64_e32 v[2:3], v[12:13]
	s_movk_i32 s0, 0xffe0
	v_ldexp_f64 v[4:5], v[2:3], s0
	s_mov_b32 s0, 0
	s_mov_b32 s1, 0xc1f00000
	v_floor_f64_e32 v[4:5], v[4:5]
	v_fma_f64 v[2:3], v[4:5], s[0:1], v[2:3]
	v_cvt_i32_f64_e32 v4, v[4:5]
	s_mov_b64 s[0:1], 0
	v_cvt_u32_f64_e32 v3, v[2:3]
	global_store_dwordx2 v[0:1], v[3:4], off
.LBB8_1684:
	s_andn2_b64 vcc, exec, s[0:1]
	s_cbranch_vccnz .LBB8_1686
; %bb.1685:
	s_waitcnt vmcnt(0)
	v_cvt_i32_f64_e32 v2, v[12:13]
	global_store_dword v[0:1], v2, off
.LBB8_1686:
	s_mov_b64 s[0:1], 0
.LBB8_1687:
	s_andn2_b64 vcc, exec, s[0:1]
	s_cbranch_vccnz .LBB8_1689
; %bb.1688:
	s_waitcnt vmcnt(0)
	v_cvt_i32_f64_e32 v2, v[12:13]
	global_store_short v[0:1], v2, off
.LBB8_1689:
	s_mov_b64 s[0:1], 0
.LBB8_1690:
	s_andn2_b64 vcc, exec, s[0:1]
	s_cbranch_vccnz .LBB8_1695
; %bb.1691:
	s_sext_i32_i16 s0, s20
	s_cmp_gt_i32 s0, 0
	s_mov_b64 s[0:1], -1
	s_cbranch_scc0 .LBB8_1693
; %bb.1692:
	s_waitcnt vmcnt(0)
	v_cvt_i32_f64_e32 v2, v[12:13]
	s_mov_b64 s[0:1], 0
	global_store_byte v[0:1], v2, off
.LBB8_1693:
	s_andn2_b64 vcc, exec, s[0:1]
	s_cbranch_vccnz .LBB8_1695
; %bb.1694:
	s_waitcnt vmcnt(0)
	v_trunc_f64_e32 v[2:3], v[12:13]
	s_movk_i32 s0, 0xffe0
	v_ldexp_f64 v[4:5], v[2:3], s0
	s_mov_b32 s0, 0
	s_mov_b32 s1, 0xc1f00000
	v_floor_f64_e32 v[4:5], v[4:5]
	v_fma_f64 v[2:3], v[4:5], s[0:1], v[2:3]
	v_cvt_u32_f64_e32 v2, v[2:3]
	global_store_byte v[0:1], v2, off
	s_endpgm
.LBB8_1695:
	s_endpgm
.LBB8_1696:
	s_mov_b64 s[0:1], -1
	s_mov_b64 s[12:13], 0
.LBB8_1697:
	s_and_b64 vcc, exec, s[0:1]
	s_cbranch_vccz .LBB8_1736
; %bb.1698:
	s_and_b32 s3, 0xffff, s20
	s_cmp_lt_i32 s3, 5
	s_mov_b64 s[0:1], -1
	s_cbranch_scc1 .LBB8_1719
; %bb.1699:
	s_cmp_lt_i32 s3, 8
	s_cbranch_scc1 .LBB8_1709
; %bb.1700:
	s_cmp_lt_i32 s3, 9
	s_cbranch_scc1 .LBB8_1706
; %bb.1701:
	s_cmp_gt_i32 s3, 9
	s_cbranch_scc0 .LBB8_1703
; %bb.1702:
	v_mov_b32_e32 v2, 0
	v_mov_b32_e32 v3, v2
	global_store_dwordx4 v[6:7], v[0:3], off
	s_mov_b64 s[0:1], 0
.LBB8_1703:
	s_andn2_b64 vcc, exec, s[0:1]
	s_cbranch_vccnz .LBB8_1705
; %bb.1704:
	v_cvt_f32_f64_e32 v2, v[0:1]
	v_mov_b32_e32 v3, 0
	global_store_dwordx2 v[6:7], v[2:3], off
.LBB8_1705:
	s_mov_b64 s[0:1], 0
.LBB8_1706:
	s_andn2_b64 vcc, exec, s[0:1]
	s_cbranch_vccnz .LBB8_1708
; %bb.1707:
	s_movk_i32 s0, 0x1ff
	v_and_or_b32 v2, v1, s0, v0
	v_cmp_ne_u32_e32 vcc, 0, v2
	v_cndmask_b32_e64 v2, 0, 1, vcc
	v_lshrrev_b32_e32 v3, 8, v1
	s_movk_i32 s0, 0xffe
	v_bfe_u32 v11, v1, 20, 11
	v_and_or_b32 v2, v3, s0, v2
	v_sub_u32_e32 v14, 0x3f1, v11
	v_or_b32_e32 v3, 0x1000, v2
	v_med3_i32 v14, v14, 0, 13
	v_lshrrev_b32_e32 v15, v14, v3
	v_lshlrev_b32_e32 v14, v14, v15
	v_cmp_ne_u32_e32 vcc, v14, v3
	v_cndmask_b32_e64 v3, 0, 1, vcc
	v_add_u32_e32 v11, 0xfffffc10, v11
	v_or_b32_e32 v3, v15, v3
	v_lshl_or_b32 v14, v11, 12, v2
	v_cmp_gt_i32_e32 vcc, 1, v11
	v_cndmask_b32_e32 v3, v14, v3, vcc
	v_and_b32_e32 v14, 7, v3
	v_cmp_lt_i32_e32 vcc, 5, v14
	v_cndmask_b32_e64 v15, 0, 1, vcc
	v_cmp_eq_u32_e32 vcc, 3, v14
	v_cndmask_b32_e64 v14, 0, 1, vcc
	v_or_b32_e32 v14, v14, v15
	v_lshrrev_b32_e32 v3, 2, v3
	v_add_u32_e32 v3, v3, v14
	v_mov_b32_e32 v14, 0x7c00
	v_cmp_gt_i32_e32 vcc, 31, v11
	v_cndmask_b32_e32 v3, v14, v3, vcc
	v_mov_b32_e32 v15, 0x7e00
	v_cmp_ne_u32_e32 vcc, 0, v2
	s_movk_i32 s0, 0x40f
	v_cndmask_b32_e32 v2, v14, v15, vcc
	v_cmp_eq_u32_e32 vcc, s0, v11
	v_cndmask_b32_e32 v2, v3, v2, vcc
	v_lshrrev_b32_e32 v3, 16, v1
	s_mov_b32 s0, 0x8000
	v_and_or_b32 v2, v3, s0, v2
	v_and_b32_e32 v2, 0xffff, v2
	global_store_dword v[6:7], v2, off
.LBB8_1708:
	s_mov_b64 s[0:1], 0
.LBB8_1709:
	s_andn2_b64 vcc, exec, s[0:1]
	s_cbranch_vccnz .LBB8_1718
; %bb.1710:
	s_cmp_lt_i32 s3, 6
	s_mov_b64 s[0:1], -1
	s_cbranch_scc1 .LBB8_1716
; %bb.1711:
	s_cmp_gt_i32 s3, 6
	s_cbranch_scc0 .LBB8_1713
; %bb.1712:
	global_store_dwordx2 v[6:7], v[0:1], off
	s_mov_b64 s[0:1], 0
.LBB8_1713:
	s_andn2_b64 vcc, exec, s[0:1]
	s_cbranch_vccnz .LBB8_1715
; %bb.1714:
	v_cvt_f32_f64_e32 v2, v[0:1]
	global_store_dword v[6:7], v2, off
.LBB8_1715:
	s_mov_b64 s[0:1], 0
.LBB8_1716:
	s_andn2_b64 vcc, exec, s[0:1]
	s_cbranch_vccnz .LBB8_1718
; %bb.1717:
	s_movk_i32 s0, 0x1ff
	v_and_or_b32 v2, v1, s0, v0
	v_cmp_ne_u32_e32 vcc, 0, v2
	v_cndmask_b32_e64 v2, 0, 1, vcc
	v_lshrrev_b32_e32 v3, 8, v1
	s_movk_i32 s0, 0xffe
	v_bfe_u32 v11, v1, 20, 11
	v_and_or_b32 v2, v3, s0, v2
	v_sub_u32_e32 v14, 0x3f1, v11
	v_or_b32_e32 v3, 0x1000, v2
	v_med3_i32 v14, v14, 0, 13
	v_lshrrev_b32_e32 v15, v14, v3
	v_lshlrev_b32_e32 v14, v14, v15
	v_cmp_ne_u32_e32 vcc, v14, v3
	v_cndmask_b32_e64 v3, 0, 1, vcc
	v_add_u32_e32 v11, 0xfffffc10, v11
	v_or_b32_e32 v3, v15, v3
	v_lshl_or_b32 v14, v11, 12, v2
	v_cmp_gt_i32_e32 vcc, 1, v11
	v_cndmask_b32_e32 v3, v14, v3, vcc
	v_and_b32_e32 v14, 7, v3
	v_cmp_lt_i32_e32 vcc, 5, v14
	v_cndmask_b32_e64 v15, 0, 1, vcc
	v_cmp_eq_u32_e32 vcc, 3, v14
	v_cndmask_b32_e64 v14, 0, 1, vcc
	v_or_b32_e32 v14, v14, v15
	v_lshrrev_b32_e32 v3, 2, v3
	v_add_u32_e32 v3, v3, v14
	v_mov_b32_e32 v14, 0x7c00
	v_cmp_gt_i32_e32 vcc, 31, v11
	v_cndmask_b32_e32 v3, v14, v3, vcc
	v_mov_b32_e32 v15, 0x7e00
	v_cmp_ne_u32_e32 vcc, 0, v2
	s_movk_i32 s0, 0x40f
	v_cndmask_b32_e32 v2, v14, v15, vcc
	v_cmp_eq_u32_e32 vcc, s0, v11
	v_cndmask_b32_e32 v2, v3, v2, vcc
	v_lshrrev_b32_e32 v3, 16, v1
	s_mov_b32 s0, 0x8000
	v_and_or_b32 v2, v3, s0, v2
	global_store_short v[6:7], v2, off
.LBB8_1718:
	s_mov_b64 s[0:1], 0
.LBB8_1719:
	s_andn2_b64 vcc, exec, s[0:1]
	s_cbranch_vccnz .LBB8_1735
; %bb.1720:
	s_cmp_lt_i32 s3, 2
	s_mov_b64 s[0:1], -1
	s_cbranch_scc1 .LBB8_1730
; %bb.1721:
	s_cmp_lt_i32 s3, 3
	s_cbranch_scc1 .LBB8_1727
; %bb.1722:
	s_cmp_gt_i32 s3, 3
	s_cbranch_scc0 .LBB8_1724
; %bb.1723:
	v_trunc_f64_e32 v[2:3], v[0:1]
	s_movk_i32 s0, 0xffe0
	v_ldexp_f64 v[14:15], v[2:3], s0
	s_mov_b32 s0, 0
	s_mov_b32 s1, 0xc1f00000
	v_floor_f64_e32 v[14:15], v[14:15]
	v_fma_f64 v[2:3], v[14:15], s[0:1], v[2:3]
	v_cvt_i32_f64_e32 v15, v[14:15]
	s_mov_b64 s[0:1], 0
	v_cvt_u32_f64_e32 v14, v[2:3]
	global_store_dwordx2 v[6:7], v[14:15], off
.LBB8_1724:
	s_andn2_b64 vcc, exec, s[0:1]
	s_cbranch_vccnz .LBB8_1726
; %bb.1725:
	v_cvt_i32_f64_e32 v2, v[0:1]
	global_store_dword v[6:7], v2, off
.LBB8_1726:
	s_mov_b64 s[0:1], 0
.LBB8_1727:
	s_andn2_b64 vcc, exec, s[0:1]
	s_cbranch_vccnz .LBB8_1729
; %bb.1728:
	v_cvt_i32_f64_e32 v2, v[0:1]
	global_store_short v[6:7], v2, off
.LBB8_1729:
	s_mov_b64 s[0:1], 0
.LBB8_1730:
	s_andn2_b64 vcc, exec, s[0:1]
	s_cbranch_vccnz .LBB8_1735
; %bb.1731:
	s_cmp_gt_i32 s3, 0
	s_mov_b64 s[0:1], -1
	s_cbranch_scc0 .LBB8_1733
; %bb.1732:
	v_cvt_i32_f64_e32 v2, v[0:1]
	s_mov_b64 s[0:1], 0
	global_store_byte v[6:7], v2, off
.LBB8_1733:
	s_andn2_b64 vcc, exec, s[0:1]
	s_cbranch_vccnz .LBB8_1735
; %bb.1734:
	v_trunc_f64_e32 v[0:1], v[0:1]
	s_movk_i32 s0, 0xffe0
	v_ldexp_f64 v[2:3], v[0:1], s0
	s_mov_b32 s0, 0
	s_mov_b32 s1, 0xc1f00000
	v_floor_f64_e32 v[2:3], v[2:3]
	v_fma_f64 v[0:1], v[2:3], s[0:1], v[0:1]
	v_cvt_u32_f64_e32 v0, v[0:1]
	global_store_byte v[6:7], v0, off
.LBB8_1735:
	s_mov_b64 s[12:13], -1
.LBB8_1736:
	s_andn2_b64 vcc, exec, s[12:13]
	s_cbranch_vccnz .LBB8_2051
; %bb.1737:
	s_lshl_b32 s18, s2, 7
	v_add_u32_e32 v2, s18, v10
	v_ashrrev_i32_e32 v1, 31, v2
	v_mov_b32_e32 v3, s9
	v_add_co_u32_e32 v0, vcc, s8, v2
	s_cmp_lt_i32 s20, 11
	v_addc_co_u32_e32 v1, vcc, v3, v1, vcc
	s_cbranch_scc1 .LBB8_1815
; %bb.1738:
	s_and_b32 s19, 0xffff, s20
	s_mov_b64 s[12:13], -1
	s_mov_b64 s[2:3], 0
	s_cmp_gt_i32 s19, 25
	s_mov_b64 s[10:11], 0
	s_mov_b64 s[0:1], 0
	s_cbranch_scc0 .LBB8_1771
; %bb.1739:
	s_cmp_gt_i32 s19, 28
	s_cbranch_scc0 .LBB8_1754
; %bb.1740:
	s_cmp_gt_i32 s19, 43
	;; [unrolled: 3-line block ×3, first 2 shown]
	s_cbranch_scc0 .LBB8_1744
; %bb.1742:
	s_mov_b64 s[0:1], -1
	s_mov_b64 s[12:13], 0
	s_cmp_eq_u32 s19, 46
	s_cbranch_scc0 .LBB8_1744
; %bb.1743:
	v_cvt_f32_f64_e32 v3, v[4:5]
	s_movk_i32 s0, 0x7fff
	v_mov_b32_e32 v6, 0x7fc0
	s_mov_b64 s[10:11], -1
	v_bfe_u32 v7, v3, 16, 1
	v_cmp_o_f32_e32 vcc, v3, v3
	v_add3_u32 v3, v3, v7, s0
	v_cndmask_b32_sdwa v3, v6, v3, vcc dst_sel:DWORD dst_unused:UNUSED_PAD src0_sel:DWORD src1_sel:WORD_1
	global_store_dword v[0:1], v3, off
	s_mov_b64 s[0:1], 0
.LBB8_1744:
	s_and_b64 vcc, exec, s[12:13]
	s_cbranch_vccz .LBB8_1749
; %bb.1745:
	s_cmp_eq_u32 s19, 44
	s_mov_b64 s[0:1], -1
	s_cbranch_scc0 .LBB8_1749
; %bb.1746:
	v_cvt_f32_f64_e32 v3, v[4:5]
	s_movk_i32 s0, 0xff
	v_mov_b32_e32 v7, 0xff
	v_bfe_u32 v6, v3, 23, 8
	v_cmp_ne_u32_e32 vcc, s0, v6
	s_and_saveexec_b64 s[10:11], vcc
; %bb.1747:
	s_mov_b32 s0, 0x3fffff
	v_lshrrev_b32_e32 v7, 23, v3
	v_and_b32_e32 v10, 0x400000, v3
	v_and_or_b32 v3, v3, s0, v6
	v_cmp_ne_u32_e32 vcc, 0, v10
	v_cmp_ne_u32_e64 s[0:1], 0, v3
	s_and_b64 s[0:1], vcc, s[0:1]
	v_cndmask_b32_e64 v3, 0, 1, s[0:1]
	v_add_u32_e32 v7, v7, v3
; %bb.1748:
	s_or_b64 exec, exec, s[10:11]
	s_mov_b64 s[0:1], 0
	s_mov_b64 s[10:11], -1
	global_store_byte v[0:1], v7, off
.LBB8_1749:
	s_mov_b64 s[12:13], 0
.LBB8_1750:
	s_and_b64 vcc, exec, s[12:13]
	s_cbranch_vccz .LBB8_1753
; %bb.1751:
	s_cmp_eq_u32 s19, 29
	s_mov_b64 s[0:1], -1
	s_cbranch_scc0 .LBB8_1753
; %bb.1752:
	v_trunc_f64_e32 v[6:7], v[4:5]
	s_movk_i32 s0, 0xffe0
	s_mov_b64 s[10:11], -1
	v_ldexp_f64 v[10:11], v[6:7], s0
	s_mov_b32 s0, 0
	s_mov_b32 s1, 0xc1f00000
	v_floor_f64_e32 v[10:11], v[10:11]
	v_fma_f64 v[6:7], v[10:11], s[0:1], v[6:7]
	v_cvt_u32_f64_e32 v11, v[10:11]
	s_mov_b64 s[0:1], 0
	v_cvt_u32_f64_e32 v10, v[6:7]
	global_store_dwordx2 v[0:1], v[10:11], off
.LBB8_1753:
	s_mov_b64 s[12:13], 0
.LBB8_1754:
	s_and_b64 vcc, exec, s[12:13]
	s_cbranch_vccz .LBB8_1770
; %bb.1755:
	s_cmp_lt_i32 s19, 27
	s_mov_b64 s[10:11], -1
	s_cbranch_scc1 .LBB8_1761
; %bb.1756:
	v_cvt_u32_f64_e32 v3, v[4:5]
	s_cmp_gt_i32 s19, 27
	s_cbranch_scc0 .LBB8_1758
; %bb.1757:
	s_mov_b64 s[10:11], 0
	global_store_dword v[0:1], v3, off
.LBB8_1758:
	s_andn2_b64 vcc, exec, s[10:11]
	s_cbranch_vccnz .LBB8_1760
; %bb.1759:
	global_store_short v[0:1], v3, off
.LBB8_1760:
	s_mov_b64 s[10:11], 0
.LBB8_1761:
	s_andn2_b64 vcc, exec, s[10:11]
	s_cbranch_vccnz .LBB8_1769
; %bb.1762:
	v_cvt_f32_f64_e32 v3, v[4:5]
	s_mov_b32 s10, 0x43800000
	v_mov_b32_e32 v7, 0x80
	v_and_b32_e32 v6, 0x7fffffff, v3
	v_cmp_gt_u32_e32 vcc, s10, v6
	s_and_saveexec_b64 s[10:11], vcc
	s_cbranch_execz .LBB8_1768
; %bb.1763:
	s_mov_b32 s12, 0x3bffffff
	v_cmp_lt_u32_e32 vcc, s12, v6
	s_mov_b64 s[12:13], 0
                                        ; implicit-def: $vgpr6
	s_and_saveexec_b64 s[16:17], vcc
	s_xor_b64 s[16:17], exec, s[16:17]
	s_cbranch_execz .LBB8_2059
; %bb.1764:
	v_bfe_u32 v6, v3, 20, 1
	s_mov_b32 s21, 0x487ffff
	v_add3_u32 v6, v3, v6, s21
	s_mov_b64 s[12:13], exec
	v_lshrrev_b32_e32 v6, 20, v6
	s_andn2_saveexec_b64 s[16:17], s[16:17]
	s_cbranch_execnz .LBB8_2060
.LBB8_1765:
	s_or_b64 exec, exec, s[16:17]
	v_mov_b32_e32 v7, 0
	s_and_saveexec_b64 s[16:17], s[12:13]
.LBB8_1766:
	v_lshrrev_b32_e32 v3, 24, v3
	s_movk_i32 s12, 0x80
	v_and_or_b32 v7, v3, s12, v6
.LBB8_1767:
	s_or_b64 exec, exec, s[16:17]
.LBB8_1768:
	s_or_b64 exec, exec, s[10:11]
	global_store_byte v[0:1], v7, off
.LBB8_1769:
	s_mov_b64 s[10:11], -1
.LBB8_1770:
	s_mov_b64 s[12:13], 0
.LBB8_1771:
	s_and_b64 vcc, exec, s[12:13]
	s_cbranch_vccz .LBB8_1811
; %bb.1772:
	s_cmp_gt_i32 s19, 22
	s_mov_b64 s[2:3], -1
	s_cbranch_scc0 .LBB8_1804
; %bb.1773:
	s_cmp_lt_i32 s19, 24
	s_cbranch_scc1 .LBB8_1793
; %bb.1774:
	s_cmp_gt_i32 s19, 24
	s_cbranch_scc0 .LBB8_1782
; %bb.1775:
	v_cvt_f32_f64_e32 v3, v[4:5]
	s_mov_b32 s2, 0x47800000
	v_mov_b32_e32 v7, 0x80
	v_and_b32_e32 v6, 0x7fffffff, v3
	v_cmp_gt_u32_e32 vcc, s2, v6
	s_and_saveexec_b64 s[2:3], vcc
	s_cbranch_execz .LBB8_1781
; %bb.1776:
	s_mov_b32 s10, 0x37ffffff
	v_cmp_lt_u32_e32 vcc, s10, v6
	s_mov_b64 s[10:11], 0
                                        ; implicit-def: $vgpr6
	s_and_saveexec_b64 s[12:13], vcc
	s_xor_b64 s[12:13], exec, s[12:13]
	s_cbranch_execz .LBB8_2062
; %bb.1777:
	v_bfe_u32 v6, v3, 21, 1
	s_mov_b32 s16, 0x88fffff
	v_add3_u32 v6, v3, v6, s16
	s_mov_b64 s[10:11], exec
	v_lshrrev_b32_e32 v6, 21, v6
	s_andn2_saveexec_b64 s[12:13], s[12:13]
	s_cbranch_execnz .LBB8_2063
.LBB8_1778:
	s_or_b64 exec, exec, s[12:13]
	v_mov_b32_e32 v7, 0
	s_and_saveexec_b64 s[12:13], s[10:11]
.LBB8_1779:
	v_lshrrev_b32_e32 v3, 24, v3
	s_movk_i32 s10, 0x80
	v_and_or_b32 v7, v3, s10, v6
.LBB8_1780:
	s_or_b64 exec, exec, s[12:13]
.LBB8_1781:
	s_or_b64 exec, exec, s[2:3]
	s_mov_b64 s[2:3], 0
	global_store_byte v[0:1], v7, off
.LBB8_1782:
	s_and_b64 vcc, exec, s[2:3]
	s_cbranch_vccz .LBB8_1792
; %bb.1783:
	v_cvt_f32_f64_e32 v3, v[4:5]
	s_mov_b32 s2, 0x43f00000
                                        ; implicit-def: $vgpr6
	v_and_b32_e32 v7, 0x7fffffff, v3
	v_cmp_gt_u32_e32 vcc, s2, v7
	s_and_saveexec_b64 s[2:3], vcc
	s_xor_b64 s[2:3], exec, s[2:3]
	s_cbranch_execz .LBB8_1789
; %bb.1784:
	s_mov_b32 s10, 0x3c7fffff
	v_cmp_lt_u32_e32 vcc, s10, v7
                                        ; implicit-def: $vgpr6
	s_and_saveexec_b64 s[10:11], vcc
	s_xor_b64 s[10:11], exec, s[10:11]
; %bb.1785:
	v_bfe_u32 v6, v3, 20, 1
	s_mov_b32 s12, 0x407ffff
	v_add3_u32 v6, v3, v6, s12
	v_lshrrev_b32_e32 v7, 20, v6
	v_and_b32_e32 v6, 0xff00000, v6
	s_mov_b32 s12, 0x7f00000
	v_mov_b32_e32 v10, 0x7e
	v_cmp_ne_u32_e32 vcc, s12, v6
	v_cndmask_b32_e32 v6, v10, v7, vcc
; %bb.1786:
	s_andn2_saveexec_b64 s[10:11], s[10:11]
; %bb.1787:
	s_mov_b32 s12, 0x46800000
	v_add_f32_e64 v6, |v3|, s12
; %bb.1788:
	s_or_b64 exec, exec, s[10:11]
                                        ; implicit-def: $vgpr7
.LBB8_1789:
	s_andn2_saveexec_b64 s[2:3], s[2:3]
; %bb.1790:
	s_mov_b32 s10, 0x7f800000
	v_mov_b32_e32 v6, 0x7e
	v_mov_b32_e32 v10, 0x7f
	v_cmp_lt_u32_e32 vcc, s10, v7
	v_cndmask_b32_e32 v6, v6, v10, vcc
; %bb.1791:
	s_or_b64 exec, exec, s[2:3]
	v_lshrrev_b32_e32 v3, 24, v3
	s_movk_i32 s2, 0x80
	v_and_or_b32 v3, v3, s2, v6
	global_store_byte v[0:1], v3, off
.LBB8_1792:
	s_mov_b64 s[2:3], 0
.LBB8_1793:
	s_andn2_b64 vcc, exec, s[2:3]
	s_cbranch_vccnz .LBB8_1803
; %bb.1794:
	v_cvt_f32_f64_e32 v3, v[4:5]
	s_mov_b32 s2, 0x47800000
                                        ; implicit-def: $vgpr6
	v_and_b32_e32 v7, 0x7fffffff, v3
	v_cmp_gt_u32_e32 vcc, s2, v7
	s_and_saveexec_b64 s[2:3], vcc
	s_xor_b64 s[2:3], exec, s[2:3]
	s_cbranch_execz .LBB8_1800
; %bb.1795:
	s_mov_b32 s10, 0x387fffff
	v_cmp_lt_u32_e32 vcc, s10, v7
                                        ; implicit-def: $vgpr6
	s_and_saveexec_b64 s[10:11], vcc
	s_xor_b64 s[10:11], exec, s[10:11]
; %bb.1796:
	v_bfe_u32 v6, v3, 21, 1
	s_mov_b32 s12, 0x80fffff
	v_add3_u32 v6, v3, v6, s12
	v_lshrrev_b32_e32 v6, 21, v6
; %bb.1797:
	s_andn2_saveexec_b64 s[10:11], s[10:11]
; %bb.1798:
	s_mov_b32 s12, 0x43000000
	v_add_f32_e64 v6, |v3|, s12
; %bb.1799:
	s_or_b64 exec, exec, s[10:11]
                                        ; implicit-def: $vgpr7
.LBB8_1800:
	s_andn2_saveexec_b64 s[2:3], s[2:3]
; %bb.1801:
	s_mov_b32 s10, 0x7f800000
	v_mov_b32_e32 v6, 0x7c
	v_mov_b32_e32 v10, 0x7f
	v_cmp_lt_u32_e32 vcc, s10, v7
	v_cndmask_b32_e32 v6, v6, v10, vcc
; %bb.1802:
	s_or_b64 exec, exec, s[2:3]
	v_lshrrev_b32_e32 v3, 24, v3
	s_movk_i32 s2, 0x80
	v_and_or_b32 v3, v3, s2, v6
	global_store_byte v[0:1], v3, off
.LBB8_1803:
	s_mov_b64 s[2:3], 0
	s_mov_b64 s[10:11], -1
.LBB8_1804:
	s_andn2_b64 vcc, exec, s[2:3]
	s_mov_b64 s[2:3], 0
	s_cbranch_vccnz .LBB8_1811
; %bb.1805:
	s_cmp_gt_i32 s19, 14
	s_mov_b64 s[12:13], -1
	s_cbranch_scc0 .LBB8_1809
; %bb.1806:
	s_cmp_eq_u32 s19, 15
	s_mov_b64 s[0:1], -1
	s_cbranch_scc0 .LBB8_1808
; %bb.1807:
	v_cvt_f32_f64_e32 v3, v[4:5]
	s_movk_i32 s0, 0x7fff
	v_mov_b32_e32 v6, 0x7fc0
	s_mov_b64 s[10:11], -1
	v_bfe_u32 v7, v3, 16, 1
	v_cmp_o_f32_e32 vcc, v3, v3
	v_add3_u32 v3, v3, v7, s0
	v_cndmask_b32_sdwa v3, v6, v3, vcc dst_sel:DWORD dst_unused:UNUSED_PAD src0_sel:DWORD src1_sel:WORD_1
	global_store_short v[0:1], v3, off
	s_mov_b64 s[0:1], 0
.LBB8_1808:
	s_mov_b64 s[12:13], 0
.LBB8_1809:
	s_and_b64 vcc, exec, s[12:13]
	s_cbranch_vccz .LBB8_1811
; %bb.1810:
	s_cmp_lg_u32 s19, 11
	s_mov_b64 s[2:3], -1
	s_cselect_b64 s[0:1], -1, 0
.LBB8_1811:
	s_and_b64 vcc, exec, s[0:1]
	s_cbranch_vccnz .LBB8_2061
; %bb.1812:
	s_andn2_b64 vcc, exec, s[2:3]
	s_cbranch_vccnz .LBB8_1814
.LBB8_1813:
	v_cmp_neq_f64_e32 vcc, 0, v[4:5]
	s_mov_b64 s[10:11], -1
	v_cndmask_b32_e64 v3, 0, 1, vcc
	global_store_byte v[0:1], v3, off
.LBB8_1814:
	s_mov_b64 s[0:1], 0
	s_branch .LBB8_1816
.LBB8_1815:
	s_mov_b64 s[0:1], -1
	s_mov_b64 s[10:11], 0
.LBB8_1816:
	s_and_b64 vcc, exec, s[0:1]
	s_cbranch_vccz .LBB8_1855
; %bb.1817:
	s_and_b32 s2, 0xffff, s20
	s_cmp_lt_i32 s2, 5
	s_mov_b64 s[0:1], -1
	s_cbranch_scc1 .LBB8_1838
; %bb.1818:
	s_cmp_lt_i32 s2, 8
	s_cbranch_scc1 .LBB8_1828
; %bb.1819:
	s_cmp_lt_i32 s2, 9
	s_cbranch_scc1 .LBB8_1825
; %bb.1820:
	s_cmp_gt_i32 s2, 9
	s_cbranch_scc0 .LBB8_1822
; %bb.1821:
	v_mov_b32_e32 v6, 0
	v_mov_b32_e32 v7, v6
	global_store_dwordx4 v[0:1], v[4:7], off
	s_mov_b64 s[0:1], 0
.LBB8_1822:
	s_andn2_b64 vcc, exec, s[0:1]
	s_cbranch_vccnz .LBB8_1824
; %bb.1823:
	v_cvt_f32_f64_e32 v6, v[4:5]
	v_mov_b32_e32 v7, 0
	global_store_dwordx2 v[0:1], v[6:7], off
.LBB8_1824:
	s_mov_b64 s[0:1], 0
.LBB8_1825:
	s_andn2_b64 vcc, exec, s[0:1]
	s_cbranch_vccnz .LBB8_1827
; %bb.1826:
	s_movk_i32 s0, 0x1ff
	v_and_or_b32 v3, v5, s0, v4
	v_cmp_ne_u32_e32 vcc, 0, v3
	v_cndmask_b32_e64 v3, 0, 1, vcc
	v_lshrrev_b32_e32 v6, 8, v5
	s_movk_i32 s0, 0xffe
	v_bfe_u32 v7, v5, 20, 11
	v_and_or_b32 v3, v6, s0, v3
	v_sub_u32_e32 v10, 0x3f1, v7
	v_or_b32_e32 v6, 0x1000, v3
	v_med3_i32 v10, v10, 0, 13
	v_lshrrev_b32_e32 v11, v10, v6
	v_lshlrev_b32_e32 v10, v10, v11
	v_cmp_ne_u32_e32 vcc, v10, v6
	v_cndmask_b32_e64 v6, 0, 1, vcc
	v_add_u32_e32 v7, 0xfffffc10, v7
	v_or_b32_e32 v6, v11, v6
	v_lshl_or_b32 v10, v7, 12, v3
	v_cmp_gt_i32_e32 vcc, 1, v7
	v_cndmask_b32_e32 v6, v10, v6, vcc
	v_and_b32_e32 v10, 7, v6
	v_cmp_lt_i32_e32 vcc, 5, v10
	v_cndmask_b32_e64 v11, 0, 1, vcc
	v_cmp_eq_u32_e32 vcc, 3, v10
	v_cndmask_b32_e64 v10, 0, 1, vcc
	v_or_b32_e32 v10, v10, v11
	v_lshrrev_b32_e32 v6, 2, v6
	v_add_u32_e32 v6, v6, v10
	v_mov_b32_e32 v10, 0x7c00
	v_cmp_gt_i32_e32 vcc, 31, v7
	v_cndmask_b32_e32 v6, v10, v6, vcc
	v_mov_b32_e32 v11, 0x7e00
	v_cmp_ne_u32_e32 vcc, 0, v3
	s_movk_i32 s0, 0x40f
	v_cndmask_b32_e32 v3, v10, v11, vcc
	v_cmp_eq_u32_e32 vcc, s0, v7
	v_cndmask_b32_e32 v3, v6, v3, vcc
	v_lshrrev_b32_e32 v6, 16, v5
	s_mov_b32 s0, 0x8000
	v_and_or_b32 v3, v6, s0, v3
	v_and_b32_e32 v3, 0xffff, v3
	global_store_dword v[0:1], v3, off
.LBB8_1827:
	s_mov_b64 s[0:1], 0
.LBB8_1828:
	s_andn2_b64 vcc, exec, s[0:1]
	s_cbranch_vccnz .LBB8_1837
; %bb.1829:
	s_cmp_lt_i32 s2, 6
	s_mov_b64 s[0:1], -1
	s_cbranch_scc1 .LBB8_1835
; %bb.1830:
	s_cmp_gt_i32 s2, 6
	s_cbranch_scc0 .LBB8_1832
; %bb.1831:
	global_store_dwordx2 v[0:1], v[4:5], off
	s_mov_b64 s[0:1], 0
.LBB8_1832:
	s_andn2_b64 vcc, exec, s[0:1]
	s_cbranch_vccnz .LBB8_1834
; %bb.1833:
	v_cvt_f32_f64_e32 v3, v[4:5]
	global_store_dword v[0:1], v3, off
.LBB8_1834:
	s_mov_b64 s[0:1], 0
.LBB8_1835:
	s_andn2_b64 vcc, exec, s[0:1]
	s_cbranch_vccnz .LBB8_1837
; %bb.1836:
	s_movk_i32 s0, 0x1ff
	v_and_or_b32 v3, v5, s0, v4
	v_cmp_ne_u32_e32 vcc, 0, v3
	v_cndmask_b32_e64 v3, 0, 1, vcc
	v_lshrrev_b32_e32 v6, 8, v5
	s_movk_i32 s0, 0xffe
	v_bfe_u32 v7, v5, 20, 11
	v_and_or_b32 v3, v6, s0, v3
	v_sub_u32_e32 v10, 0x3f1, v7
	v_or_b32_e32 v6, 0x1000, v3
	v_med3_i32 v10, v10, 0, 13
	v_lshrrev_b32_e32 v11, v10, v6
	v_lshlrev_b32_e32 v10, v10, v11
	v_cmp_ne_u32_e32 vcc, v10, v6
	v_cndmask_b32_e64 v6, 0, 1, vcc
	v_add_u32_e32 v7, 0xfffffc10, v7
	v_or_b32_e32 v6, v11, v6
	v_lshl_or_b32 v10, v7, 12, v3
	v_cmp_gt_i32_e32 vcc, 1, v7
	v_cndmask_b32_e32 v6, v10, v6, vcc
	v_and_b32_e32 v10, 7, v6
	v_cmp_lt_i32_e32 vcc, 5, v10
	v_cndmask_b32_e64 v11, 0, 1, vcc
	v_cmp_eq_u32_e32 vcc, 3, v10
	v_cndmask_b32_e64 v10, 0, 1, vcc
	v_or_b32_e32 v10, v10, v11
	v_lshrrev_b32_e32 v6, 2, v6
	v_add_u32_e32 v6, v6, v10
	v_mov_b32_e32 v10, 0x7c00
	v_cmp_gt_i32_e32 vcc, 31, v7
	v_cndmask_b32_e32 v6, v10, v6, vcc
	v_mov_b32_e32 v11, 0x7e00
	v_cmp_ne_u32_e32 vcc, 0, v3
	s_movk_i32 s0, 0x40f
	v_cndmask_b32_e32 v3, v10, v11, vcc
	v_cmp_eq_u32_e32 vcc, s0, v7
	v_cndmask_b32_e32 v3, v6, v3, vcc
	v_lshrrev_b32_e32 v6, 16, v5
	s_mov_b32 s0, 0x8000
	v_and_or_b32 v3, v6, s0, v3
	global_store_short v[0:1], v3, off
.LBB8_1837:
	s_mov_b64 s[0:1], 0
.LBB8_1838:
	s_andn2_b64 vcc, exec, s[0:1]
	s_cbranch_vccnz .LBB8_1854
; %bb.1839:
	s_cmp_lt_i32 s2, 2
	s_mov_b64 s[0:1], -1
	s_cbranch_scc1 .LBB8_1849
; %bb.1840:
	s_cmp_lt_i32 s2, 3
	s_cbranch_scc1 .LBB8_1846
; %bb.1841:
	s_cmp_gt_i32 s2, 3
	s_cbranch_scc0 .LBB8_1843
; %bb.1842:
	v_trunc_f64_e32 v[6:7], v[4:5]
	s_movk_i32 s0, 0xffe0
	v_ldexp_f64 v[10:11], v[6:7], s0
	s_mov_b32 s0, 0
	s_mov_b32 s1, 0xc1f00000
	v_floor_f64_e32 v[10:11], v[10:11]
	v_fma_f64 v[6:7], v[10:11], s[0:1], v[6:7]
	v_cvt_i32_f64_e32 v11, v[10:11]
	s_mov_b64 s[0:1], 0
	v_cvt_u32_f64_e32 v10, v[6:7]
	global_store_dwordx2 v[0:1], v[10:11], off
.LBB8_1843:
	s_andn2_b64 vcc, exec, s[0:1]
	s_cbranch_vccnz .LBB8_1845
; %bb.1844:
	v_cvt_i32_f64_e32 v3, v[4:5]
	global_store_dword v[0:1], v3, off
.LBB8_1845:
	s_mov_b64 s[0:1], 0
.LBB8_1846:
	s_andn2_b64 vcc, exec, s[0:1]
	s_cbranch_vccnz .LBB8_1848
; %bb.1847:
	v_cvt_i32_f64_e32 v3, v[4:5]
	global_store_short v[0:1], v3, off
.LBB8_1848:
	s_mov_b64 s[0:1], 0
.LBB8_1849:
	s_andn2_b64 vcc, exec, s[0:1]
	s_cbranch_vccnz .LBB8_1854
; %bb.1850:
	s_cmp_gt_i32 s2, 0
	s_mov_b64 s[0:1], -1
	s_cbranch_scc0 .LBB8_1852
; %bb.1851:
	v_cvt_i32_f64_e32 v3, v[4:5]
	s_mov_b64 s[0:1], 0
	global_store_byte v[0:1], v3, off
.LBB8_1852:
	s_andn2_b64 vcc, exec, s[0:1]
	s_cbranch_vccnz .LBB8_1854
; %bb.1853:
	v_trunc_f64_e32 v[3:4], v[4:5]
	s_movk_i32 s0, 0xffe0
	v_ldexp_f64 v[5:6], v[3:4], s0
	s_mov_b32 s0, 0
	s_mov_b32 s1, 0xc1f00000
	v_floor_f64_e32 v[5:6], v[5:6]
	v_fma_f64 v[3:4], v[5:6], s[0:1], v[3:4]
	v_cvt_u32_f64_e32 v3, v[3:4]
	global_store_byte v[0:1], v3, off
.LBB8_1854:
	s_mov_b64 s[10:11], -1
.LBB8_1855:
	s_andn2_b64 vcc, exec, s[10:11]
	s_cbranch_vccnz .LBB8_2051
; %bb.1856:
	v_add_u32_e32 v2, s18, v2
	v_ashrrev_i32_e32 v1, 31, v2
	v_mov_b32_e32 v3, s9
	v_add_co_u32_e32 v0, vcc, s8, v2
	s_cmp_lt_i32 s20, 11
	v_addc_co_u32_e32 v1, vcc, v3, v1, vcc
	s_cbranch_scc1 .LBB8_1934
; %bb.1857:
	s_and_b32 s19, 0xffff, s20
	s_mov_b64 s[12:13], -1
	s_mov_b64 s[2:3], 0
	s_cmp_gt_i32 s19, 25
	s_mov_b64 s[10:11], 0
	s_mov_b64 s[0:1], 0
	s_cbranch_scc0 .LBB8_1890
; %bb.1858:
	s_cmp_gt_i32 s19, 28
	s_cbranch_scc0 .LBB8_1873
; %bb.1859:
	s_cmp_gt_i32 s19, 43
	;; [unrolled: 3-line block ×3, first 2 shown]
	s_cbranch_scc0 .LBB8_1863
; %bb.1861:
	s_mov_b64 s[0:1], -1
	s_mov_b64 s[12:13], 0
	s_cmp_eq_u32 s19, 46
	s_cbranch_scc0 .LBB8_1863
; %bb.1862:
	v_cvt_f32_f64_e32 v3, v[8:9]
	s_movk_i32 s0, 0x7fff
	v_mov_b32_e32 v4, 0x7fc0
	s_mov_b64 s[10:11], -1
	v_bfe_u32 v5, v3, 16, 1
	v_cmp_o_f32_e32 vcc, v3, v3
	v_add3_u32 v3, v3, v5, s0
	v_cndmask_b32_sdwa v3, v4, v3, vcc dst_sel:DWORD dst_unused:UNUSED_PAD src0_sel:DWORD src1_sel:WORD_1
	global_store_dword v[0:1], v3, off
	s_mov_b64 s[0:1], 0
.LBB8_1863:
	s_and_b64 vcc, exec, s[12:13]
	s_cbranch_vccz .LBB8_1868
; %bb.1864:
	s_cmp_eq_u32 s19, 44
	s_mov_b64 s[0:1], -1
	s_cbranch_scc0 .LBB8_1868
; %bb.1865:
	v_cvt_f32_f64_e32 v3, v[8:9]
	s_movk_i32 s0, 0xff
	v_mov_b32_e32 v5, 0xff
	v_bfe_u32 v4, v3, 23, 8
	v_cmp_ne_u32_e32 vcc, s0, v4
	s_and_saveexec_b64 s[10:11], vcc
; %bb.1866:
	s_mov_b32 s0, 0x3fffff
	v_lshrrev_b32_e32 v5, 23, v3
	v_and_b32_e32 v6, 0x400000, v3
	v_and_or_b32 v3, v3, s0, v4
	v_cmp_ne_u32_e32 vcc, 0, v6
	v_cmp_ne_u32_e64 s[0:1], 0, v3
	s_and_b64 s[0:1], vcc, s[0:1]
	v_cndmask_b32_e64 v3, 0, 1, s[0:1]
	v_add_u32_e32 v5, v5, v3
; %bb.1867:
	s_or_b64 exec, exec, s[10:11]
	s_mov_b64 s[0:1], 0
	s_mov_b64 s[10:11], -1
	global_store_byte v[0:1], v5, off
.LBB8_1868:
	s_mov_b64 s[12:13], 0
.LBB8_1869:
	s_and_b64 vcc, exec, s[12:13]
	s_cbranch_vccz .LBB8_1872
; %bb.1870:
	s_cmp_eq_u32 s19, 29
	s_mov_b64 s[0:1], -1
	s_cbranch_scc0 .LBB8_1872
; %bb.1871:
	v_trunc_f64_e32 v[3:4], v[8:9]
	s_movk_i32 s0, 0xffe0
	s_mov_b64 s[10:11], -1
	v_ldexp_f64 v[5:6], v[3:4], s0
	s_mov_b32 s0, 0
	s_mov_b32 s1, 0xc1f00000
	v_floor_f64_e32 v[5:6], v[5:6]
	v_fma_f64 v[3:4], v[5:6], s[0:1], v[3:4]
	v_cvt_u32_f64_e32 v5, v[5:6]
	s_mov_b64 s[0:1], 0
	v_cvt_u32_f64_e32 v4, v[3:4]
	global_store_dwordx2 v[0:1], v[4:5], off
.LBB8_1872:
	s_mov_b64 s[12:13], 0
.LBB8_1873:
	s_and_b64 vcc, exec, s[12:13]
	s_cbranch_vccz .LBB8_1889
; %bb.1874:
	s_cmp_lt_i32 s19, 27
	s_mov_b64 s[10:11], -1
	s_cbranch_scc1 .LBB8_1880
; %bb.1875:
	v_cvt_u32_f64_e32 v3, v[8:9]
	s_cmp_gt_i32 s19, 27
	s_cbranch_scc0 .LBB8_1877
; %bb.1876:
	s_mov_b64 s[10:11], 0
	global_store_dword v[0:1], v3, off
.LBB8_1877:
	s_andn2_b64 vcc, exec, s[10:11]
	s_cbranch_vccnz .LBB8_1879
; %bb.1878:
	global_store_short v[0:1], v3, off
.LBB8_1879:
	s_mov_b64 s[10:11], 0
.LBB8_1880:
	s_andn2_b64 vcc, exec, s[10:11]
	s_cbranch_vccnz .LBB8_1888
; %bb.1881:
	v_cvt_f32_f64_e32 v3, v[8:9]
	s_mov_b32 s10, 0x43800000
	v_mov_b32_e32 v5, 0x80
	v_and_b32_e32 v4, 0x7fffffff, v3
	v_cmp_gt_u32_e32 vcc, s10, v4
	s_and_saveexec_b64 s[10:11], vcc
	s_cbranch_execz .LBB8_1887
; %bb.1882:
	s_mov_b32 s12, 0x3bffffff
	v_cmp_lt_u32_e32 vcc, s12, v4
	s_mov_b64 s[12:13], 0
                                        ; implicit-def: $vgpr4
	s_and_saveexec_b64 s[16:17], vcc
	s_xor_b64 s[16:17], exec, s[16:17]
	s_cbranch_execz .LBB8_2064
; %bb.1883:
	v_bfe_u32 v4, v3, 20, 1
	s_mov_b32 s21, 0x487ffff
	v_add3_u32 v4, v3, v4, s21
	s_mov_b64 s[12:13], exec
	v_lshrrev_b32_e32 v4, 20, v4
	s_andn2_saveexec_b64 s[16:17], s[16:17]
	s_cbranch_execnz .LBB8_2065
.LBB8_1884:
	s_or_b64 exec, exec, s[16:17]
	v_mov_b32_e32 v5, 0
	s_and_saveexec_b64 s[16:17], s[12:13]
.LBB8_1885:
	v_lshrrev_b32_e32 v3, 24, v3
	s_movk_i32 s12, 0x80
	v_and_or_b32 v5, v3, s12, v4
.LBB8_1886:
	s_or_b64 exec, exec, s[16:17]
.LBB8_1887:
	s_or_b64 exec, exec, s[10:11]
	global_store_byte v[0:1], v5, off
.LBB8_1888:
	s_mov_b64 s[10:11], -1
.LBB8_1889:
	s_mov_b64 s[12:13], 0
.LBB8_1890:
	s_and_b64 vcc, exec, s[12:13]
	s_cbranch_vccz .LBB8_1930
; %bb.1891:
	s_cmp_gt_i32 s19, 22
	s_mov_b64 s[2:3], -1
	s_cbranch_scc0 .LBB8_1923
; %bb.1892:
	s_cmp_lt_i32 s19, 24
	s_cbranch_scc1 .LBB8_1912
; %bb.1893:
	s_cmp_gt_i32 s19, 24
	s_cbranch_scc0 .LBB8_1901
; %bb.1894:
	v_cvt_f32_f64_e32 v3, v[8:9]
	s_mov_b32 s2, 0x47800000
	v_mov_b32_e32 v5, 0x80
	v_and_b32_e32 v4, 0x7fffffff, v3
	v_cmp_gt_u32_e32 vcc, s2, v4
	s_and_saveexec_b64 s[2:3], vcc
	s_cbranch_execz .LBB8_1900
; %bb.1895:
	s_mov_b32 s10, 0x37ffffff
	v_cmp_lt_u32_e32 vcc, s10, v4
	s_mov_b64 s[10:11], 0
                                        ; implicit-def: $vgpr4
	s_and_saveexec_b64 s[12:13], vcc
	s_xor_b64 s[12:13], exec, s[12:13]
	s_cbranch_execz .LBB8_2067
; %bb.1896:
	v_bfe_u32 v4, v3, 21, 1
	s_mov_b32 s16, 0x88fffff
	v_add3_u32 v4, v3, v4, s16
	s_mov_b64 s[10:11], exec
	v_lshrrev_b32_e32 v4, 21, v4
	s_andn2_saveexec_b64 s[12:13], s[12:13]
	s_cbranch_execnz .LBB8_2068
.LBB8_1897:
	s_or_b64 exec, exec, s[12:13]
	v_mov_b32_e32 v5, 0
	s_and_saveexec_b64 s[12:13], s[10:11]
.LBB8_1898:
	v_lshrrev_b32_e32 v3, 24, v3
	s_movk_i32 s10, 0x80
	v_and_or_b32 v5, v3, s10, v4
.LBB8_1899:
	s_or_b64 exec, exec, s[12:13]
.LBB8_1900:
	s_or_b64 exec, exec, s[2:3]
	s_mov_b64 s[2:3], 0
	global_store_byte v[0:1], v5, off
.LBB8_1901:
	s_and_b64 vcc, exec, s[2:3]
	s_cbranch_vccz .LBB8_1911
; %bb.1902:
	v_cvt_f32_f64_e32 v3, v[8:9]
	s_mov_b32 s2, 0x43f00000
                                        ; implicit-def: $vgpr4
	v_and_b32_e32 v5, 0x7fffffff, v3
	v_cmp_gt_u32_e32 vcc, s2, v5
	s_and_saveexec_b64 s[2:3], vcc
	s_xor_b64 s[2:3], exec, s[2:3]
	s_cbranch_execz .LBB8_1908
; %bb.1903:
	s_mov_b32 s10, 0x3c7fffff
	v_cmp_lt_u32_e32 vcc, s10, v5
                                        ; implicit-def: $vgpr4
	s_and_saveexec_b64 s[10:11], vcc
	s_xor_b64 s[10:11], exec, s[10:11]
; %bb.1904:
	v_bfe_u32 v4, v3, 20, 1
	s_mov_b32 s12, 0x407ffff
	v_add3_u32 v4, v3, v4, s12
	v_lshrrev_b32_e32 v5, 20, v4
	v_and_b32_e32 v4, 0xff00000, v4
	s_mov_b32 s12, 0x7f00000
	v_mov_b32_e32 v6, 0x7e
	v_cmp_ne_u32_e32 vcc, s12, v4
	v_cndmask_b32_e32 v4, v6, v5, vcc
; %bb.1905:
	s_andn2_saveexec_b64 s[10:11], s[10:11]
; %bb.1906:
	s_mov_b32 s12, 0x46800000
	v_add_f32_e64 v4, |v3|, s12
; %bb.1907:
	s_or_b64 exec, exec, s[10:11]
                                        ; implicit-def: $vgpr5
.LBB8_1908:
	s_andn2_saveexec_b64 s[2:3], s[2:3]
; %bb.1909:
	s_mov_b32 s10, 0x7f800000
	v_mov_b32_e32 v4, 0x7e
	v_mov_b32_e32 v6, 0x7f
	v_cmp_lt_u32_e32 vcc, s10, v5
	v_cndmask_b32_e32 v4, v4, v6, vcc
; %bb.1910:
	s_or_b64 exec, exec, s[2:3]
	v_lshrrev_b32_e32 v3, 24, v3
	s_movk_i32 s2, 0x80
	v_and_or_b32 v3, v3, s2, v4
	global_store_byte v[0:1], v3, off
.LBB8_1911:
	s_mov_b64 s[2:3], 0
.LBB8_1912:
	s_andn2_b64 vcc, exec, s[2:3]
	s_cbranch_vccnz .LBB8_1922
; %bb.1913:
	v_cvt_f32_f64_e32 v3, v[8:9]
	s_mov_b32 s2, 0x47800000
                                        ; implicit-def: $vgpr4
	v_and_b32_e32 v5, 0x7fffffff, v3
	v_cmp_gt_u32_e32 vcc, s2, v5
	s_and_saveexec_b64 s[2:3], vcc
	s_xor_b64 s[2:3], exec, s[2:3]
	s_cbranch_execz .LBB8_1919
; %bb.1914:
	s_mov_b32 s10, 0x387fffff
	v_cmp_lt_u32_e32 vcc, s10, v5
                                        ; implicit-def: $vgpr4
	s_and_saveexec_b64 s[10:11], vcc
	s_xor_b64 s[10:11], exec, s[10:11]
; %bb.1915:
	v_bfe_u32 v4, v3, 21, 1
	s_mov_b32 s12, 0x80fffff
	v_add3_u32 v4, v3, v4, s12
	v_lshrrev_b32_e32 v4, 21, v4
; %bb.1916:
	s_andn2_saveexec_b64 s[10:11], s[10:11]
; %bb.1917:
	s_mov_b32 s12, 0x43000000
	v_add_f32_e64 v4, |v3|, s12
; %bb.1918:
	s_or_b64 exec, exec, s[10:11]
                                        ; implicit-def: $vgpr5
.LBB8_1919:
	s_andn2_saveexec_b64 s[2:3], s[2:3]
; %bb.1920:
	s_mov_b32 s10, 0x7f800000
	v_mov_b32_e32 v4, 0x7c
	v_mov_b32_e32 v6, 0x7f
	v_cmp_lt_u32_e32 vcc, s10, v5
	v_cndmask_b32_e32 v4, v4, v6, vcc
; %bb.1921:
	s_or_b64 exec, exec, s[2:3]
	v_lshrrev_b32_e32 v3, 24, v3
	s_movk_i32 s2, 0x80
	v_and_or_b32 v3, v3, s2, v4
	global_store_byte v[0:1], v3, off
.LBB8_1922:
	s_mov_b64 s[2:3], 0
	s_mov_b64 s[10:11], -1
.LBB8_1923:
	s_andn2_b64 vcc, exec, s[2:3]
	s_mov_b64 s[2:3], 0
	s_cbranch_vccnz .LBB8_1930
; %bb.1924:
	s_cmp_gt_i32 s19, 14
	s_mov_b64 s[12:13], -1
	s_cbranch_scc0 .LBB8_1928
; %bb.1925:
	s_cmp_eq_u32 s19, 15
	s_mov_b64 s[0:1], -1
	s_cbranch_scc0 .LBB8_1927
; %bb.1926:
	v_cvt_f32_f64_e32 v3, v[8:9]
	s_movk_i32 s0, 0x7fff
	v_mov_b32_e32 v4, 0x7fc0
	s_mov_b64 s[10:11], -1
	v_bfe_u32 v5, v3, 16, 1
	v_cmp_o_f32_e32 vcc, v3, v3
	v_add3_u32 v3, v3, v5, s0
	v_cndmask_b32_sdwa v3, v4, v3, vcc dst_sel:DWORD dst_unused:UNUSED_PAD src0_sel:DWORD src1_sel:WORD_1
	global_store_short v[0:1], v3, off
	s_mov_b64 s[0:1], 0
.LBB8_1927:
	s_mov_b64 s[12:13], 0
.LBB8_1928:
	s_and_b64 vcc, exec, s[12:13]
	s_cbranch_vccz .LBB8_1930
; %bb.1929:
	s_cmp_lg_u32 s19, 11
	s_mov_b64 s[2:3], -1
	s_cselect_b64 s[0:1], -1, 0
.LBB8_1930:
	s_and_b64 vcc, exec, s[0:1]
	s_cbranch_vccnz .LBB8_2066
; %bb.1931:
	s_andn2_b64 vcc, exec, s[2:3]
	s_cbranch_vccnz .LBB8_1933
.LBB8_1932:
	v_cmp_neq_f64_e32 vcc, 0, v[8:9]
	s_mov_b64 s[10:11], -1
	v_cndmask_b32_e64 v3, 0, 1, vcc
	global_store_byte v[0:1], v3, off
.LBB8_1933:
	s_mov_b64 s[0:1], 0
	s_branch .LBB8_1935
.LBB8_1934:
	s_mov_b64 s[0:1], -1
	s_mov_b64 s[10:11], 0
.LBB8_1935:
	s_and_b64 vcc, exec, s[0:1]
	s_cbranch_vccz .LBB8_1974
; %bb.1936:
	s_and_b32 s2, 0xffff, s20
	s_cmp_lt_i32 s2, 5
	s_mov_b64 s[0:1], -1
	s_cbranch_scc1 .LBB8_1957
; %bb.1937:
	s_cmp_lt_i32 s2, 8
	s_cbranch_scc1 .LBB8_1947
; %bb.1938:
	s_cmp_lt_i32 s2, 9
	s_cbranch_scc1 .LBB8_1944
; %bb.1939:
	s_cmp_gt_i32 s2, 9
	s_cbranch_scc0 .LBB8_1941
; %bb.1940:
	v_mov_b32_e32 v10, 0
	v_mov_b32_e32 v11, v10
	global_store_dwordx4 v[0:1], v[8:11], off
	s_mov_b64 s[0:1], 0
.LBB8_1941:
	s_andn2_b64 vcc, exec, s[0:1]
	s_cbranch_vccnz .LBB8_1943
; %bb.1942:
	v_cvt_f32_f64_e32 v3, v[8:9]
	v_mov_b32_e32 v4, 0
	global_store_dwordx2 v[0:1], v[3:4], off
.LBB8_1943:
	s_mov_b64 s[0:1], 0
.LBB8_1944:
	s_andn2_b64 vcc, exec, s[0:1]
	s_cbranch_vccnz .LBB8_1946
; %bb.1945:
	s_movk_i32 s0, 0x1ff
	v_and_or_b32 v3, v9, s0, v8
	v_cmp_ne_u32_e32 vcc, 0, v3
	v_cndmask_b32_e64 v3, 0, 1, vcc
	v_lshrrev_b32_e32 v4, 8, v9
	s_movk_i32 s0, 0xffe
	v_bfe_u32 v5, v9, 20, 11
	v_and_or_b32 v3, v4, s0, v3
	v_sub_u32_e32 v6, 0x3f1, v5
	v_or_b32_e32 v4, 0x1000, v3
	v_med3_i32 v6, v6, 0, 13
	v_lshrrev_b32_e32 v7, v6, v4
	v_lshlrev_b32_e32 v6, v6, v7
	v_cmp_ne_u32_e32 vcc, v6, v4
	v_cndmask_b32_e64 v4, 0, 1, vcc
	v_add_u32_e32 v5, 0xfffffc10, v5
	v_or_b32_e32 v4, v7, v4
	v_lshl_or_b32 v6, v5, 12, v3
	v_cmp_gt_i32_e32 vcc, 1, v5
	v_cndmask_b32_e32 v4, v6, v4, vcc
	v_and_b32_e32 v6, 7, v4
	v_cmp_lt_i32_e32 vcc, 5, v6
	v_cndmask_b32_e64 v7, 0, 1, vcc
	v_cmp_eq_u32_e32 vcc, 3, v6
	v_cndmask_b32_e64 v6, 0, 1, vcc
	v_or_b32_e32 v6, v6, v7
	v_lshrrev_b32_e32 v4, 2, v4
	v_add_u32_e32 v4, v4, v6
	v_mov_b32_e32 v6, 0x7c00
	v_cmp_gt_i32_e32 vcc, 31, v5
	v_cndmask_b32_e32 v4, v6, v4, vcc
	v_mov_b32_e32 v7, 0x7e00
	v_cmp_ne_u32_e32 vcc, 0, v3
	s_movk_i32 s0, 0x40f
	v_cndmask_b32_e32 v3, v6, v7, vcc
	v_cmp_eq_u32_e32 vcc, s0, v5
	v_cndmask_b32_e32 v3, v4, v3, vcc
	v_lshrrev_b32_e32 v4, 16, v9
	s_mov_b32 s0, 0x8000
	v_and_or_b32 v3, v4, s0, v3
	v_and_b32_e32 v3, 0xffff, v3
	global_store_dword v[0:1], v3, off
.LBB8_1946:
	s_mov_b64 s[0:1], 0
.LBB8_1947:
	s_andn2_b64 vcc, exec, s[0:1]
	s_cbranch_vccnz .LBB8_1956
; %bb.1948:
	s_cmp_lt_i32 s2, 6
	s_mov_b64 s[0:1], -1
	s_cbranch_scc1 .LBB8_1954
; %bb.1949:
	s_cmp_gt_i32 s2, 6
	s_cbranch_scc0 .LBB8_1951
; %bb.1950:
	global_store_dwordx2 v[0:1], v[8:9], off
	s_mov_b64 s[0:1], 0
.LBB8_1951:
	s_andn2_b64 vcc, exec, s[0:1]
	s_cbranch_vccnz .LBB8_1953
; %bb.1952:
	v_cvt_f32_f64_e32 v3, v[8:9]
	global_store_dword v[0:1], v3, off
.LBB8_1953:
	s_mov_b64 s[0:1], 0
.LBB8_1954:
	s_andn2_b64 vcc, exec, s[0:1]
	s_cbranch_vccnz .LBB8_1956
; %bb.1955:
	s_movk_i32 s0, 0x1ff
	v_and_or_b32 v3, v9, s0, v8
	v_cmp_ne_u32_e32 vcc, 0, v3
	v_cndmask_b32_e64 v3, 0, 1, vcc
	v_lshrrev_b32_e32 v4, 8, v9
	s_movk_i32 s0, 0xffe
	v_bfe_u32 v5, v9, 20, 11
	v_and_or_b32 v3, v4, s0, v3
	v_sub_u32_e32 v6, 0x3f1, v5
	v_or_b32_e32 v4, 0x1000, v3
	v_med3_i32 v6, v6, 0, 13
	v_lshrrev_b32_e32 v7, v6, v4
	v_lshlrev_b32_e32 v6, v6, v7
	v_cmp_ne_u32_e32 vcc, v6, v4
	v_cndmask_b32_e64 v4, 0, 1, vcc
	v_add_u32_e32 v5, 0xfffffc10, v5
	v_or_b32_e32 v4, v7, v4
	v_lshl_or_b32 v6, v5, 12, v3
	v_cmp_gt_i32_e32 vcc, 1, v5
	v_cndmask_b32_e32 v4, v6, v4, vcc
	v_and_b32_e32 v6, 7, v4
	v_cmp_lt_i32_e32 vcc, 5, v6
	v_cndmask_b32_e64 v7, 0, 1, vcc
	v_cmp_eq_u32_e32 vcc, 3, v6
	v_cndmask_b32_e64 v6, 0, 1, vcc
	v_or_b32_e32 v6, v6, v7
	v_lshrrev_b32_e32 v4, 2, v4
	v_add_u32_e32 v4, v4, v6
	v_mov_b32_e32 v6, 0x7c00
	v_cmp_gt_i32_e32 vcc, 31, v5
	v_cndmask_b32_e32 v4, v6, v4, vcc
	v_mov_b32_e32 v7, 0x7e00
	v_cmp_ne_u32_e32 vcc, 0, v3
	s_movk_i32 s0, 0x40f
	v_cndmask_b32_e32 v3, v6, v7, vcc
	v_cmp_eq_u32_e32 vcc, s0, v5
	v_cndmask_b32_e32 v3, v4, v3, vcc
	v_lshrrev_b32_e32 v4, 16, v9
	s_mov_b32 s0, 0x8000
	v_and_or_b32 v3, v4, s0, v3
	global_store_short v[0:1], v3, off
.LBB8_1956:
	s_mov_b64 s[0:1], 0
.LBB8_1957:
	s_andn2_b64 vcc, exec, s[0:1]
	s_cbranch_vccnz .LBB8_1973
; %bb.1958:
	s_cmp_lt_i32 s2, 2
	s_mov_b64 s[0:1], -1
	s_cbranch_scc1 .LBB8_1968
; %bb.1959:
	s_cmp_lt_i32 s2, 3
	s_cbranch_scc1 .LBB8_1965
; %bb.1960:
	s_cmp_gt_i32 s2, 3
	s_cbranch_scc0 .LBB8_1962
; %bb.1961:
	v_trunc_f64_e32 v[3:4], v[8:9]
	s_movk_i32 s0, 0xffe0
	v_ldexp_f64 v[5:6], v[3:4], s0
	s_mov_b32 s0, 0
	s_mov_b32 s1, 0xc1f00000
	v_floor_f64_e32 v[5:6], v[5:6]
	v_fma_f64 v[3:4], v[5:6], s[0:1], v[3:4]
	v_cvt_i32_f64_e32 v5, v[5:6]
	s_mov_b64 s[0:1], 0
	v_cvt_u32_f64_e32 v4, v[3:4]
	global_store_dwordx2 v[0:1], v[4:5], off
.LBB8_1962:
	s_andn2_b64 vcc, exec, s[0:1]
	s_cbranch_vccnz .LBB8_1964
; %bb.1963:
	v_cvt_i32_f64_e32 v3, v[8:9]
	global_store_dword v[0:1], v3, off
.LBB8_1964:
	s_mov_b64 s[0:1], 0
.LBB8_1965:
	s_andn2_b64 vcc, exec, s[0:1]
	s_cbranch_vccnz .LBB8_1967
; %bb.1966:
	v_cvt_i32_f64_e32 v3, v[8:9]
	global_store_short v[0:1], v3, off
.LBB8_1967:
	s_mov_b64 s[0:1], 0
.LBB8_1968:
	s_andn2_b64 vcc, exec, s[0:1]
	s_cbranch_vccnz .LBB8_1973
; %bb.1969:
	s_cmp_gt_i32 s2, 0
	s_mov_b64 s[0:1], -1
	s_cbranch_scc0 .LBB8_1971
; %bb.1970:
	v_cvt_i32_f64_e32 v3, v[8:9]
	s_mov_b64 s[0:1], 0
	global_store_byte v[0:1], v3, off
.LBB8_1971:
	s_andn2_b64 vcc, exec, s[0:1]
	s_cbranch_vccnz .LBB8_1973
; %bb.1972:
	v_trunc_f64_e32 v[3:4], v[8:9]
	s_movk_i32 s0, 0xffe0
	v_ldexp_f64 v[5:6], v[3:4], s0
	s_mov_b32 s0, 0
	s_mov_b32 s1, 0xc1f00000
	v_floor_f64_e32 v[5:6], v[5:6]
	v_fma_f64 v[3:4], v[5:6], s[0:1], v[3:4]
	v_cvt_u32_f64_e32 v3, v[3:4]
	global_store_byte v[0:1], v3, off
.LBB8_1973:
	s_mov_b64 s[10:11], -1
.LBB8_1974:
	s_andn2_b64 vcc, exec, s[10:11]
	s_cbranch_vccnz .LBB8_2051
; %bb.1975:
	v_add_u32_e32 v0, s18, v2
	v_ashrrev_i32_e32 v1, 31, v0
	v_mov_b32_e32 v2, s9
	v_add_co_u32_e32 v0, vcc, s8, v0
	s_cmp_lt_i32 s20, 11
	v_addc_co_u32_e32 v1, vcc, v2, v1, vcc
	s_cbranch_scc1 .LBB8_2052
; %bb.1976:
	s_and_b32 s16, 0xffff, s20
	s_mov_b64 s[8:9], -1
	s_mov_b64 s[2:3], 0
	s_cmp_gt_i32 s16, 25
	s_mov_b64 s[0:1], 0
	s_cbranch_scc0 .LBB8_2009
; %bb.1977:
	s_cmp_gt_i32 s16, 28
	s_cbranch_scc0 .LBB8_1993
; %bb.1978:
	s_cmp_gt_i32 s16, 43
	;; [unrolled: 3-line block ×3, first 2 shown]
	s_cbranch_scc0 .LBB8_1983
; %bb.1980:
	s_cmp_eq_u32 s16, 46
	s_mov_b64 s[0:1], -1
	s_cbranch_scc0 .LBB8_1982
; %bb.1981:
	v_cvt_f32_f64_e32 v2, v[12:13]
	s_movk_i32 s0, 0x7fff
	v_mov_b32_e32 v3, 0x7fc0
	v_bfe_u32 v4, v2, 16, 1
	v_cmp_o_f32_e32 vcc, v2, v2
	v_add3_u32 v2, v2, v4, s0
	v_cndmask_b32_sdwa v2, v3, v2, vcc dst_sel:DWORD dst_unused:UNUSED_PAD src0_sel:DWORD src1_sel:WORD_1
	global_store_dword v[0:1], v2, off
	s_mov_b64 s[0:1], 0
.LBB8_1982:
	s_mov_b64 s[8:9], 0
.LBB8_1983:
	s_and_b64 vcc, exec, s[8:9]
	s_cbranch_vccz .LBB8_1988
; %bb.1984:
	s_cmp_eq_u32 s16, 44
	s_mov_b64 s[0:1], -1
	s_cbranch_scc0 .LBB8_1988
; %bb.1985:
	v_cvt_f32_f64_e32 v2, v[12:13]
	s_movk_i32 s0, 0xff
	v_mov_b32_e32 v4, 0xff
	v_bfe_u32 v3, v2, 23, 8
	v_cmp_ne_u32_e32 vcc, s0, v3
	s_and_saveexec_b64 s[8:9], vcc
; %bb.1986:
	s_mov_b32 s0, 0x3fffff
	v_lshrrev_b32_e32 v4, 23, v2
	v_and_b32_e32 v5, 0x400000, v2
	v_and_or_b32 v2, v2, s0, v3
	v_cmp_ne_u32_e32 vcc, 0, v5
	v_cmp_ne_u32_e64 s[0:1], 0, v2
	s_and_b64 s[0:1], vcc, s[0:1]
	v_cndmask_b32_e64 v2, 0, 1, s[0:1]
	v_add_u32_e32 v4, v4, v2
; %bb.1987:
	s_or_b64 exec, exec, s[8:9]
	s_mov_b64 s[0:1], 0
	global_store_byte v[0:1], v4, off
.LBB8_1988:
	s_mov_b64 s[8:9], 0
.LBB8_1989:
	s_and_b64 vcc, exec, s[8:9]
	s_cbranch_vccz .LBB8_1992
; %bb.1990:
	s_cmp_eq_u32 s16, 29
	s_mov_b64 s[0:1], -1
	s_cbranch_scc0 .LBB8_1992
; %bb.1991:
	v_trunc_f64_e32 v[2:3], v[12:13]
	s_movk_i32 s0, 0xffe0
	v_ldexp_f64 v[4:5], v[2:3], s0
	s_mov_b32 s0, 0
	s_mov_b32 s1, 0xc1f00000
	v_floor_f64_e32 v[4:5], v[4:5]
	v_fma_f64 v[2:3], v[4:5], s[0:1], v[2:3]
	v_cvt_u32_f64_e32 v4, v[4:5]
	s_mov_b64 s[0:1], 0
	v_cvt_u32_f64_e32 v3, v[2:3]
	global_store_dwordx2 v[0:1], v[3:4], off
.LBB8_1992:
	s_mov_b64 s[8:9], 0
.LBB8_1993:
	s_and_b64 vcc, exec, s[8:9]
	s_cbranch_vccz .LBB8_2008
; %bb.1994:
	s_cmp_lt_i32 s16, 27
	s_mov_b64 s[8:9], -1
	s_cbranch_scc1 .LBB8_2000
; %bb.1995:
	v_cvt_u32_f64_e32 v2, v[12:13]
	s_cmp_gt_i32 s16, 27
	s_cbranch_scc0 .LBB8_1997
; %bb.1996:
	global_store_dword v[0:1], v2, off
	s_mov_b64 s[8:9], 0
.LBB8_1997:
	s_andn2_b64 vcc, exec, s[8:9]
	s_cbranch_vccnz .LBB8_1999
; %bb.1998:
	global_store_short v[0:1], v2, off
.LBB8_1999:
	s_mov_b64 s[8:9], 0
.LBB8_2000:
	s_andn2_b64 vcc, exec, s[8:9]
	s_cbranch_vccnz .LBB8_2008
; %bb.2001:
	v_cvt_f32_f64_e32 v2, v[12:13]
	s_mov_b32 s8, 0x43800000
	v_mov_b32_e32 v4, 0x80
	v_and_b32_e32 v3, 0x7fffffff, v2
	v_cmp_gt_u32_e32 vcc, s8, v3
	s_and_saveexec_b64 s[8:9], vcc
	s_cbranch_execz .LBB8_2007
; %bb.2002:
	s_mov_b32 s10, 0x3bffffff
	v_cmp_lt_u32_e32 vcc, s10, v3
	s_mov_b64 s[10:11], 0
                                        ; implicit-def: $vgpr3
	s_and_saveexec_b64 s[12:13], vcc
	s_xor_b64 s[12:13], exec, s[12:13]
	s_cbranch_execz .LBB8_2069
; %bb.2003:
	v_bfe_u32 v3, v2, 20, 1
	s_mov_b32 s17, 0x487ffff
	v_add3_u32 v3, v2, v3, s17
	s_mov_b64 s[10:11], exec
	v_lshrrev_b32_e32 v3, 20, v3
	s_andn2_saveexec_b64 s[12:13], s[12:13]
	s_cbranch_execnz .LBB8_2070
.LBB8_2004:
	s_or_b64 exec, exec, s[12:13]
	v_mov_b32_e32 v4, 0
	s_and_saveexec_b64 s[12:13], s[10:11]
.LBB8_2005:
	v_lshrrev_b32_e32 v2, 24, v2
	s_movk_i32 s10, 0x80
	v_and_or_b32 v4, v2, s10, v3
.LBB8_2006:
	s_or_b64 exec, exec, s[12:13]
.LBB8_2007:
	s_or_b64 exec, exec, s[8:9]
	global_store_byte v[0:1], v4, off
.LBB8_2008:
	s_mov_b64 s[8:9], 0
.LBB8_2009:
	s_and_b64 vcc, exec, s[8:9]
	s_cbranch_vccz .LBB8_2049
; %bb.2010:
	s_cmp_gt_i32 s16, 22
	s_mov_b64 s[2:3], -1
	s_cbranch_scc0 .LBB8_2042
; %bb.2011:
	s_cmp_lt_i32 s16, 24
	s_cbranch_scc1 .LBB8_2031
; %bb.2012:
	s_cmp_gt_i32 s16, 24
	s_cbranch_scc0 .LBB8_2020
; %bb.2013:
	v_cvt_f32_f64_e32 v2, v[12:13]
	s_mov_b32 s2, 0x47800000
	v_mov_b32_e32 v4, 0x80
	v_and_b32_e32 v3, 0x7fffffff, v2
	v_cmp_gt_u32_e32 vcc, s2, v3
	s_and_saveexec_b64 s[2:3], vcc
	s_cbranch_execz .LBB8_2019
; %bb.2014:
	s_mov_b32 s8, 0x37ffffff
	v_cmp_lt_u32_e32 vcc, s8, v3
	s_mov_b64 s[8:9], 0
                                        ; implicit-def: $vgpr3
	s_and_saveexec_b64 s[10:11], vcc
	s_xor_b64 s[10:11], exec, s[10:11]
	s_cbranch_execz .LBB8_2072
; %bb.2015:
	v_bfe_u32 v3, v2, 21, 1
	s_mov_b32 s12, 0x88fffff
	v_add3_u32 v3, v2, v3, s12
	s_mov_b64 s[8:9], exec
	v_lshrrev_b32_e32 v3, 21, v3
	s_andn2_saveexec_b64 s[10:11], s[10:11]
	s_cbranch_execnz .LBB8_2073
.LBB8_2016:
	s_or_b64 exec, exec, s[10:11]
	v_mov_b32_e32 v4, 0
	s_and_saveexec_b64 s[10:11], s[8:9]
.LBB8_2017:
	v_lshrrev_b32_e32 v2, 24, v2
	s_movk_i32 s8, 0x80
	v_and_or_b32 v4, v2, s8, v3
.LBB8_2018:
	s_or_b64 exec, exec, s[10:11]
.LBB8_2019:
	s_or_b64 exec, exec, s[2:3]
	s_mov_b64 s[2:3], 0
	global_store_byte v[0:1], v4, off
.LBB8_2020:
	s_and_b64 vcc, exec, s[2:3]
	s_cbranch_vccz .LBB8_2030
; %bb.2021:
	v_cvt_f32_f64_e32 v2, v[12:13]
	s_mov_b32 s2, 0x43f00000
                                        ; implicit-def: $vgpr3
	v_and_b32_e32 v4, 0x7fffffff, v2
	v_cmp_gt_u32_e32 vcc, s2, v4
	s_and_saveexec_b64 s[2:3], vcc
	s_xor_b64 s[2:3], exec, s[2:3]
	s_cbranch_execz .LBB8_2027
; %bb.2022:
	s_mov_b32 s8, 0x3c7fffff
	v_cmp_lt_u32_e32 vcc, s8, v4
                                        ; implicit-def: $vgpr3
	s_and_saveexec_b64 s[8:9], vcc
	s_xor_b64 s[8:9], exec, s[8:9]
; %bb.2023:
	v_bfe_u32 v3, v2, 20, 1
	s_mov_b32 s10, 0x407ffff
	v_add3_u32 v3, v2, v3, s10
	v_lshrrev_b32_e32 v4, 20, v3
	v_and_b32_e32 v3, 0xff00000, v3
	s_mov_b32 s10, 0x7f00000
	v_mov_b32_e32 v5, 0x7e
	v_cmp_ne_u32_e32 vcc, s10, v3
	v_cndmask_b32_e32 v3, v5, v4, vcc
; %bb.2024:
	s_andn2_saveexec_b64 s[8:9], s[8:9]
; %bb.2025:
	s_mov_b32 s10, 0x46800000
	v_add_f32_e64 v3, |v2|, s10
; %bb.2026:
	s_or_b64 exec, exec, s[8:9]
                                        ; implicit-def: $vgpr4
.LBB8_2027:
	s_andn2_saveexec_b64 s[2:3], s[2:3]
; %bb.2028:
	s_mov_b32 s8, 0x7f800000
	v_mov_b32_e32 v3, 0x7e
	v_mov_b32_e32 v5, 0x7f
	v_cmp_lt_u32_e32 vcc, s8, v4
	v_cndmask_b32_e32 v3, v3, v5, vcc
; %bb.2029:
	s_or_b64 exec, exec, s[2:3]
	v_lshrrev_b32_e32 v2, 24, v2
	s_movk_i32 s2, 0x80
	v_and_or_b32 v2, v2, s2, v3
	global_store_byte v[0:1], v2, off
.LBB8_2030:
	s_mov_b64 s[2:3], 0
.LBB8_2031:
	s_andn2_b64 vcc, exec, s[2:3]
	s_cbranch_vccnz .LBB8_2041
; %bb.2032:
	v_cvt_f32_f64_e32 v2, v[12:13]
	s_mov_b32 s2, 0x47800000
                                        ; implicit-def: $vgpr3
	v_and_b32_e32 v4, 0x7fffffff, v2
	v_cmp_gt_u32_e32 vcc, s2, v4
	s_and_saveexec_b64 s[2:3], vcc
	s_xor_b64 s[2:3], exec, s[2:3]
	s_cbranch_execz .LBB8_2038
; %bb.2033:
	s_mov_b32 s8, 0x387fffff
	v_cmp_lt_u32_e32 vcc, s8, v4
                                        ; implicit-def: $vgpr3
	s_and_saveexec_b64 s[8:9], vcc
	s_xor_b64 s[8:9], exec, s[8:9]
; %bb.2034:
	v_bfe_u32 v3, v2, 21, 1
	s_mov_b32 s10, 0x80fffff
	v_add3_u32 v3, v2, v3, s10
	v_lshrrev_b32_e32 v3, 21, v3
; %bb.2035:
	s_andn2_saveexec_b64 s[8:9], s[8:9]
; %bb.2036:
	s_mov_b32 s10, 0x43000000
	v_add_f32_e64 v3, |v2|, s10
; %bb.2037:
	s_or_b64 exec, exec, s[8:9]
                                        ; implicit-def: $vgpr4
.LBB8_2038:
	s_andn2_saveexec_b64 s[2:3], s[2:3]
; %bb.2039:
	s_mov_b32 s8, 0x7f800000
	v_mov_b32_e32 v3, 0x7c
	v_mov_b32_e32 v5, 0x7f
	v_cmp_lt_u32_e32 vcc, s8, v4
	v_cndmask_b32_e32 v3, v3, v5, vcc
; %bb.2040:
	s_or_b64 exec, exec, s[2:3]
	v_lshrrev_b32_e32 v2, 24, v2
	s_movk_i32 s2, 0x80
	v_and_or_b32 v2, v2, s2, v3
	global_store_byte v[0:1], v2, off
.LBB8_2041:
	s_mov_b64 s[2:3], 0
.LBB8_2042:
	s_andn2_b64 vcc, exec, s[2:3]
	s_mov_b64 s[2:3], 0
	s_cbranch_vccnz .LBB8_2049
; %bb.2043:
	s_cmp_gt_i32 s16, 14
	s_mov_b64 s[8:9], -1
	s_cbranch_scc0 .LBB8_2047
; %bb.2044:
	s_cmp_eq_u32 s16, 15
	s_mov_b64 s[0:1], -1
	s_cbranch_scc0 .LBB8_2046
; %bb.2045:
	v_cvt_f32_f64_e32 v2, v[12:13]
	s_movk_i32 s0, 0x7fff
	v_mov_b32_e32 v3, 0x7fc0
	v_bfe_u32 v4, v2, 16, 1
	v_cmp_o_f32_e32 vcc, v2, v2
	v_add3_u32 v2, v2, v4, s0
	v_cndmask_b32_sdwa v2, v3, v2, vcc dst_sel:DWORD dst_unused:UNUSED_PAD src0_sel:DWORD src1_sel:WORD_1
	global_store_short v[0:1], v2, off
	s_mov_b64 s[0:1], 0
.LBB8_2046:
	s_mov_b64 s[8:9], 0
.LBB8_2047:
	s_and_b64 vcc, exec, s[8:9]
	s_cbranch_vccz .LBB8_2049
; %bb.2048:
	s_cmp_lg_u32 s16, 11
	s_mov_b64 s[2:3], -1
	s_cselect_b64 s[0:1], -1, 0
.LBB8_2049:
	s_and_b64 vcc, exec, s[0:1]
	s_cbranch_vccnz .LBB8_2071
.LBB8_2050:
	s_mov_b64 s[0:1], 0
	s_branch .LBB8_1652
.LBB8_2051:
	s_mov_b64 s[0:1], 0
                                        ; implicit-def: $sgpr20
                                        ; implicit-def: $vgpr0_vgpr1
	s_branch .LBB8_1651
.LBB8_2052:
	s_mov_b64 s[2:3], 0
	s_mov_b64 s[0:1], -1
	s_branch .LBB8_1652
.LBB8_2053:
	s_trap 2
	s_or_b64 s[14:15], s[14:15], exec
	s_cbranch_execz .LBB8_1516
	s_branch .LBB8_1517
.LBB8_2054:
	s_andn2_saveexec_b64 s[18:19], s[18:19]
	s_cbranch_execz .LBB8_1600
.LBB8_2055:
	s_mov_b32 s21, 0x46000000
	v_add_f32_e64 v3, |v2|, s21
	v_and_b32_e32 v3, 0xff, v3
	v_cmp_ne_u32_e32 vcc, 0, v3
	s_andn2_b64 s[16:17], s[16:17], exec
	s_and_b64 s[22:23], vcc, exec
	s_or_b64 s[16:17], s[16:17], s[22:23]
	s_or_b64 exec, exec, s[18:19]
	v_mov_b32_e32 v11, 0
	s_and_saveexec_b64 s[18:19], s[16:17]
	s_cbranch_execnz .LBB8_1601
	s_branch .LBB8_1602
.LBB8_2056:
	s_trap 2
	s_or_b64 s[14:15], s[14:15], exec
	s_cbranch_execz .LBB8_1648
	s_branch .LBB8_1649
.LBB8_2057:
	s_andn2_saveexec_b64 s[16:17], s[16:17]
	s_cbranch_execz .LBB8_1613
.LBB8_2058:
	s_mov_b32 s18, 0x42800000
	v_add_f32_e64 v3, |v2|, s18
	v_and_b32_e32 v3, 0xff, v3
	v_cmp_ne_u32_e32 vcc, 0, v3
	s_andn2_b64 s[12:13], s[12:13], exec
	s_and_b64 s[18:19], vcc, exec
	s_or_b64 s[12:13], s[12:13], s[18:19]
	s_or_b64 exec, exec, s[16:17]
	v_mov_b32_e32 v11, 0
	s_and_saveexec_b64 s[16:17], s[12:13]
	s_cbranch_execnz .LBB8_1614
	s_branch .LBB8_1615
.LBB8_2059:
	s_andn2_saveexec_b64 s[16:17], s[16:17]
	s_cbranch_execz .LBB8_1765
.LBB8_2060:
	s_mov_b32 s21, 0x46000000
	v_add_f32_e64 v6, |v3|, s21
	v_and_b32_e32 v6, 0xff, v6
	v_cmp_ne_u32_e32 vcc, 0, v6
	s_andn2_b64 s[12:13], s[12:13], exec
	s_and_b64 s[22:23], vcc, exec
	s_or_b64 s[12:13], s[12:13], s[22:23]
	s_or_b64 exec, exec, s[16:17]
	v_mov_b32_e32 v7, 0
	s_and_saveexec_b64 s[16:17], s[12:13]
	s_cbranch_execnz .LBB8_1766
	s_branch .LBB8_1767
.LBB8_2061:
	s_trap 2
	s_or_b64 s[14:15], s[14:15], exec
	s_cbranch_execz .LBB8_1813
	s_branch .LBB8_1814
.LBB8_2062:
	s_andn2_saveexec_b64 s[12:13], s[12:13]
	s_cbranch_execz .LBB8_1778
.LBB8_2063:
	s_mov_b32 s16, 0x42800000
	v_add_f32_e64 v6, |v3|, s16
	v_and_b32_e32 v6, 0xff, v6
	v_cmp_ne_u32_e32 vcc, 0, v6
	s_andn2_b64 s[10:11], s[10:11], exec
	s_and_b64 s[16:17], vcc, exec
	s_or_b64 s[10:11], s[10:11], s[16:17]
	s_or_b64 exec, exec, s[12:13]
	v_mov_b32_e32 v7, 0
	s_and_saveexec_b64 s[12:13], s[10:11]
	s_cbranch_execnz .LBB8_1779
	s_branch .LBB8_1780
.LBB8_2064:
	s_andn2_saveexec_b64 s[16:17], s[16:17]
	s_cbranch_execz .LBB8_1884
.LBB8_2065:
	s_mov_b32 s21, 0x46000000
	v_add_f32_e64 v4, |v3|, s21
	v_and_b32_e32 v4, 0xff, v4
	v_cmp_ne_u32_e32 vcc, 0, v4
	s_andn2_b64 s[12:13], s[12:13], exec
	s_and_b64 s[22:23], vcc, exec
	s_or_b64 s[12:13], s[12:13], s[22:23]
	s_or_b64 exec, exec, s[16:17]
	v_mov_b32_e32 v5, 0
	s_and_saveexec_b64 s[16:17], s[12:13]
	s_cbranch_execnz .LBB8_1885
	s_branch .LBB8_1886
.LBB8_2066:
	s_trap 2
	s_or_b64 s[14:15], s[14:15], exec
	s_cbranch_execz .LBB8_1932
	s_branch .LBB8_1933
.LBB8_2067:
	s_andn2_saveexec_b64 s[12:13], s[12:13]
	s_cbranch_execz .LBB8_1897
.LBB8_2068:
	s_mov_b32 s16, 0x42800000
	v_add_f32_e64 v4, |v3|, s16
	v_and_b32_e32 v4, 0xff, v4
	v_cmp_ne_u32_e32 vcc, 0, v4
	s_andn2_b64 s[10:11], s[10:11], exec
	s_and_b64 s[16:17], vcc, exec
	s_or_b64 s[10:11], s[10:11], s[16:17]
	s_or_b64 exec, exec, s[12:13]
	v_mov_b32_e32 v5, 0
	s_and_saveexec_b64 s[12:13], s[10:11]
	s_cbranch_execnz .LBB8_1898
	s_branch .LBB8_1899
.LBB8_2069:
	s_andn2_saveexec_b64 s[12:13], s[12:13]
	s_cbranch_execz .LBB8_2004
.LBB8_2070:
	s_mov_b32 s17, 0x46000000
	v_add_f32_e64 v3, |v2|, s17
	v_and_b32_e32 v3, 0xff, v3
	v_cmp_ne_u32_e32 vcc, 0, v3
	s_andn2_b64 s[10:11], s[10:11], exec
	s_and_b64 s[18:19], vcc, exec
	s_or_b64 s[10:11], s[10:11], s[18:19]
	s_or_b64 exec, exec, s[12:13]
	v_mov_b32_e32 v4, 0
	s_and_saveexec_b64 s[12:13], s[10:11]
	s_cbranch_execnz .LBB8_2005
	s_branch .LBB8_2006
.LBB8_2071:
	s_mov_b64 s[2:3], 0
	s_or_b64 s[14:15], s[14:15], exec
	s_trap 2
	s_branch .LBB8_2050
.LBB8_2072:
	s_andn2_saveexec_b64 s[10:11], s[10:11]
	s_cbranch_execz .LBB8_2016
.LBB8_2073:
	s_mov_b32 s12, 0x42800000
	v_add_f32_e64 v3, |v2|, s12
	v_and_b32_e32 v3, 0xff, v3
	v_cmp_ne_u32_e32 vcc, 0, v3
	s_andn2_b64 s[8:9], s[8:9], exec
	s_and_b64 s[12:13], vcc, exec
	s_or_b64 s[8:9], s[8:9], s[12:13]
	s_or_b64 exec, exec, s[10:11]
	v_mov_b32_e32 v4, 0
	s_and_saveexec_b64 s[10:11], s[8:9]
	s_cbranch_execnz .LBB8_2017
	s_branch .LBB8_2018
	.section	.rodata,"a",@progbits
	.p2align	6, 0x0
	.amdhsa_kernel _ZN2at6native32elementwise_kernel_manual_unrollILi128ELi4EZNS0_15gpu_kernel_implIZZZNS0_12_GLOBAL__N_130modified_bessel_i0_kernel_cudaERNS_18TensorIteratorBaseEENKUlvE_clEvENKUlvE_clEvEUldE_EEvS5_RKT_EUlibE_EEviT1_
		.amdhsa_group_segment_fixed_size 0
		.amdhsa_private_segment_fixed_size 0
		.amdhsa_kernarg_size 40
		.amdhsa_user_sgpr_count 6
		.amdhsa_user_sgpr_private_segment_buffer 1
		.amdhsa_user_sgpr_dispatch_ptr 0
		.amdhsa_user_sgpr_queue_ptr 0
		.amdhsa_user_sgpr_kernarg_segment_ptr 1
		.amdhsa_user_sgpr_dispatch_id 0
		.amdhsa_user_sgpr_flat_scratch_init 0
		.amdhsa_user_sgpr_private_segment_size 0
		.amdhsa_uses_dynamic_stack 0
		.amdhsa_system_sgpr_private_segment_wavefront_offset 0
		.amdhsa_system_sgpr_workgroup_id_x 1
		.amdhsa_system_sgpr_workgroup_id_y 0
		.amdhsa_system_sgpr_workgroup_id_z 0
		.amdhsa_system_sgpr_workgroup_info 0
		.amdhsa_system_vgpr_workitem_id 0
		.amdhsa_next_free_vgpr 29
		.amdhsa_next_free_sgpr 44
		.amdhsa_reserve_vcc 1
		.amdhsa_reserve_flat_scratch 0
		.amdhsa_float_round_mode_32 0
		.amdhsa_float_round_mode_16_64 0
		.amdhsa_float_denorm_mode_32 3
		.amdhsa_float_denorm_mode_16_64 3
		.amdhsa_dx10_clamp 1
		.amdhsa_ieee_mode 1
		.amdhsa_fp16_overflow 0
		.amdhsa_exception_fp_ieee_invalid_op 0
		.amdhsa_exception_fp_denorm_src 0
		.amdhsa_exception_fp_ieee_div_zero 0
		.amdhsa_exception_fp_ieee_overflow 0
		.amdhsa_exception_fp_ieee_underflow 0
		.amdhsa_exception_fp_ieee_inexact 0
		.amdhsa_exception_int_div_zero 0
	.end_amdhsa_kernel
	.section	.text._ZN2at6native32elementwise_kernel_manual_unrollILi128ELi4EZNS0_15gpu_kernel_implIZZZNS0_12_GLOBAL__N_130modified_bessel_i0_kernel_cudaERNS_18TensorIteratorBaseEENKUlvE_clEvENKUlvE_clEvEUldE_EEvS5_RKT_EUlibE_EEviT1_,"axG",@progbits,_ZN2at6native32elementwise_kernel_manual_unrollILi128ELi4EZNS0_15gpu_kernel_implIZZZNS0_12_GLOBAL__N_130modified_bessel_i0_kernel_cudaERNS_18TensorIteratorBaseEENKUlvE_clEvENKUlvE_clEvEUldE_EEvS5_RKT_EUlibE_EEviT1_,comdat
.Lfunc_end8:
	.size	_ZN2at6native32elementwise_kernel_manual_unrollILi128ELi4EZNS0_15gpu_kernel_implIZZZNS0_12_GLOBAL__N_130modified_bessel_i0_kernel_cudaERNS_18TensorIteratorBaseEENKUlvE_clEvENKUlvE_clEvEUldE_EEvS5_RKT_EUlibE_EEviT1_, .Lfunc_end8-_ZN2at6native32elementwise_kernel_manual_unrollILi128ELi4EZNS0_15gpu_kernel_implIZZZNS0_12_GLOBAL__N_130modified_bessel_i0_kernel_cudaERNS_18TensorIteratorBaseEENKUlvE_clEvENKUlvE_clEvEUldE_EEvS5_RKT_EUlibE_EEviT1_
                                        ; -- End function
	.set _ZN2at6native32elementwise_kernel_manual_unrollILi128ELi4EZNS0_15gpu_kernel_implIZZZNS0_12_GLOBAL__N_130modified_bessel_i0_kernel_cudaERNS_18TensorIteratorBaseEENKUlvE_clEvENKUlvE_clEvEUldE_EEvS5_RKT_EUlibE_EEviT1_.num_vgpr, 29
	.set _ZN2at6native32elementwise_kernel_manual_unrollILi128ELi4EZNS0_15gpu_kernel_implIZZZNS0_12_GLOBAL__N_130modified_bessel_i0_kernel_cudaERNS_18TensorIteratorBaseEENKUlvE_clEvENKUlvE_clEvEUldE_EEvS5_RKT_EUlibE_EEviT1_.num_agpr, 0
	.set _ZN2at6native32elementwise_kernel_manual_unrollILi128ELi4EZNS0_15gpu_kernel_implIZZZNS0_12_GLOBAL__N_130modified_bessel_i0_kernel_cudaERNS_18TensorIteratorBaseEENKUlvE_clEvENKUlvE_clEvEUldE_EEvS5_RKT_EUlibE_EEviT1_.numbered_sgpr, 44
	.set _ZN2at6native32elementwise_kernel_manual_unrollILi128ELi4EZNS0_15gpu_kernel_implIZZZNS0_12_GLOBAL__N_130modified_bessel_i0_kernel_cudaERNS_18TensorIteratorBaseEENKUlvE_clEvENKUlvE_clEvEUldE_EEvS5_RKT_EUlibE_EEviT1_.num_named_barrier, 0
	.set _ZN2at6native32elementwise_kernel_manual_unrollILi128ELi4EZNS0_15gpu_kernel_implIZZZNS0_12_GLOBAL__N_130modified_bessel_i0_kernel_cudaERNS_18TensorIteratorBaseEENKUlvE_clEvENKUlvE_clEvEUldE_EEvS5_RKT_EUlibE_EEviT1_.private_seg_size, 0
	.set _ZN2at6native32elementwise_kernel_manual_unrollILi128ELi4EZNS0_15gpu_kernel_implIZZZNS0_12_GLOBAL__N_130modified_bessel_i0_kernel_cudaERNS_18TensorIteratorBaseEENKUlvE_clEvENKUlvE_clEvEUldE_EEvS5_RKT_EUlibE_EEviT1_.uses_vcc, 1
	.set _ZN2at6native32elementwise_kernel_manual_unrollILi128ELi4EZNS0_15gpu_kernel_implIZZZNS0_12_GLOBAL__N_130modified_bessel_i0_kernel_cudaERNS_18TensorIteratorBaseEENKUlvE_clEvENKUlvE_clEvEUldE_EEvS5_RKT_EUlibE_EEviT1_.uses_flat_scratch, 0
	.set _ZN2at6native32elementwise_kernel_manual_unrollILi128ELi4EZNS0_15gpu_kernel_implIZZZNS0_12_GLOBAL__N_130modified_bessel_i0_kernel_cudaERNS_18TensorIteratorBaseEENKUlvE_clEvENKUlvE_clEvEUldE_EEvS5_RKT_EUlibE_EEviT1_.has_dyn_sized_stack, 0
	.set _ZN2at6native32elementwise_kernel_manual_unrollILi128ELi4EZNS0_15gpu_kernel_implIZZZNS0_12_GLOBAL__N_130modified_bessel_i0_kernel_cudaERNS_18TensorIteratorBaseEENKUlvE_clEvENKUlvE_clEvEUldE_EEvS5_RKT_EUlibE_EEviT1_.has_recursion, 0
	.set _ZN2at6native32elementwise_kernel_manual_unrollILi128ELi4EZNS0_15gpu_kernel_implIZZZNS0_12_GLOBAL__N_130modified_bessel_i0_kernel_cudaERNS_18TensorIteratorBaseEENKUlvE_clEvENKUlvE_clEvEUldE_EEvS5_RKT_EUlibE_EEviT1_.has_indirect_call, 0
	.section	.AMDGPU.csdata,"",@progbits
; Kernel info:
; codeLenInByte = 58512
; TotalNumSgprs: 48
; NumVgprs: 29
; ScratchSize: 0
; MemoryBound: 1
; FloatMode: 240
; IeeeMode: 1
; LDSByteSize: 0 bytes/workgroup (compile time only)
; SGPRBlocks: 5
; VGPRBlocks: 7
; NumSGPRsForWavesPerEU: 48
; NumVGPRsForWavesPerEU: 29
; Occupancy: 8
; WaveLimiterHint : 0
; COMPUTE_PGM_RSRC2:SCRATCH_EN: 0
; COMPUTE_PGM_RSRC2:USER_SGPR: 6
; COMPUTE_PGM_RSRC2:TRAP_HANDLER: 0
; COMPUTE_PGM_RSRC2:TGID_X_EN: 1
; COMPUTE_PGM_RSRC2:TGID_Y_EN: 0
; COMPUTE_PGM_RSRC2:TGID_Z_EN: 0
; COMPUTE_PGM_RSRC2:TIDIG_COMP_CNT: 0
	.section	.text._ZN2at6native32elementwise_kernel_manual_unrollILi128ELi4EZNS0_15gpu_kernel_implIZZZNS0_12_GLOBAL__N_130modified_bessel_i0_kernel_cudaERNS_18TensorIteratorBaseEENKUlvE_clEvENKUlvE_clEvEUldE_EEvS5_RKT_EUlibE0_EEviT1_,"axG",@progbits,_ZN2at6native32elementwise_kernel_manual_unrollILi128ELi4EZNS0_15gpu_kernel_implIZZZNS0_12_GLOBAL__N_130modified_bessel_i0_kernel_cudaERNS_18TensorIteratorBaseEENKUlvE_clEvENKUlvE_clEvEUldE_EEvS5_RKT_EUlibE0_EEviT1_,comdat
	.globl	_ZN2at6native32elementwise_kernel_manual_unrollILi128ELi4EZNS0_15gpu_kernel_implIZZZNS0_12_GLOBAL__N_130modified_bessel_i0_kernel_cudaERNS_18TensorIteratorBaseEENKUlvE_clEvENKUlvE_clEvEUldE_EEvS5_RKT_EUlibE0_EEviT1_ ; -- Begin function _ZN2at6native32elementwise_kernel_manual_unrollILi128ELi4EZNS0_15gpu_kernel_implIZZZNS0_12_GLOBAL__N_130modified_bessel_i0_kernel_cudaERNS_18TensorIteratorBaseEENKUlvE_clEvENKUlvE_clEvEUldE_EEvS5_RKT_EUlibE0_EEviT1_
	.p2align	8
	.type	_ZN2at6native32elementwise_kernel_manual_unrollILi128ELi4EZNS0_15gpu_kernel_implIZZZNS0_12_GLOBAL__N_130modified_bessel_i0_kernel_cudaERNS_18TensorIteratorBaseEENKUlvE_clEvENKUlvE_clEvEUldE_EEvS5_RKT_EUlibE0_EEviT1_,@function
_ZN2at6native32elementwise_kernel_manual_unrollILi128ELi4EZNS0_15gpu_kernel_implIZZZNS0_12_GLOBAL__N_130modified_bessel_i0_kernel_cudaERNS_18TensorIteratorBaseEENKUlvE_clEvENKUlvE_clEvEUldE_EEvS5_RKT_EUlibE0_EEviT1_: ; @_ZN2at6native32elementwise_kernel_manual_unrollILi128ELi4EZNS0_15gpu_kernel_implIZZZNS0_12_GLOBAL__N_130modified_bessel_i0_kernel_cudaERNS_18TensorIteratorBaseEENKUlvE_clEvENKUlvE_clEvEUldE_EEvS5_RKT_EUlibE0_EEviT1_
; %bb.0:
	s_load_dword s70, s[4:5], 0x0
	s_load_dword s33, s[4:5], 0x8
	s_add_u32 s34, s4, 8
	s_addc_u32 s35, s5, 0
	v_lshl_or_b32 v11, s6, 9, v0
	v_or_b32_e32 v5, 0x180, v11
	s_waitcnt lgkmcnt(0)
	s_add_i32 s72, s33, -1
	s_cmp_gt_u32 s72, 1
	v_cmp_le_i32_e32 vcc, s70, v5
	s_cselect_b64 s[40:41], -1, 0
	s_mov_b64 s[6:7], 0
	s_mov_b64 s[28:29], 0
	s_and_saveexec_b64 s[0:1], vcc
	s_xor_b64 s[42:43], exec, s[0:1]
	s_cbranch_execz .LBB9_1102
; %bb.1:
	v_mov_b32_e32 v0, 0
	global_load_ushort v0, v0, s[34:35] offset:345
	s_load_dwordx4 s[36:39], s[34:35], 0x4
	s_load_dwordx2 s[44:45], s[34:35], 0x14
	s_load_dwordx4 s[28:31], s[34:35], 0xc4
	s_load_dwordx4 s[24:27], s[34:35], 0x148
	s_cmp_lg_u32 s33, 0
	s_cselect_b64 s[50:51], -1, 0
	s_add_u32 s48, s34, 0xc4
	s_addc_u32 s49, s35, 0
	s_min_u32 s75, s72, 15
	s_cmp_gt_u32 s33, 1
	s_cselect_b64 s[46:47], -1, 0
	v_cmp_gt_i32_e32 vcc, s70, v11
	s_mov_b64 s[2:3], -1
	s_mov_b64 s[60:61], 0
	s_mov_b64 s[54:55], 0
	;; [unrolled: 1-line block ×3, first 2 shown]
	s_waitcnt vmcnt(0)
	v_readfirstlane_b32 s73, v0
	s_and_b32 s0, 0xffff, s73
	s_lshr_b32 s74, s0, 8
	s_and_saveexec_b64 s[56:57], vcc
	s_cbranch_execz .LBB9_270
; %bb.2:
	s_andn2_b64 vcc, exec, s[40:41]
	s_cbranch_vccnz .LBB9_7
; %bb.3:
	s_andn2_b64 vcc, exec, s[50:51]
	s_cbranch_vccnz .LBB9_8
; %bb.4:
	s_add_i32 s59, s75, 1
	s_cmp_eq_u32 s72, 2
	s_cbranch_scc1 .LBB9_9
; %bb.5:
	s_and_b32 s58, s59, 28
	v_mov_b32_e32 v0, 0
	s_mov_b32 s62, 0
	s_mov_b64 s[52:53], s[34:35]
	s_mov_b64 s[54:55], s[48:49]
	v_mov_b32_e32 v2, 0
	v_mov_b32_e32 v1, v11
.LBB9_6:                                ; =>This Inner Loop Header: Depth=1
	s_load_dwordx8 s[16:23], s[52:53], 0x4
	s_load_dwordx4 s[0:3], s[52:53], 0x24
	s_load_dwordx8 s[8:15], s[54:55], 0x0
	s_add_u32 s52, s52, 48
	s_addc_u32 s53, s53, 0
	s_waitcnt lgkmcnt(0)
	v_mul_hi_u32 v3, s17, v1
	s_add_i32 s62, s62, 4
	s_add_u32 s54, s54, 32
	s_addc_u32 s55, s55, 0
	v_add_u32_e32 v3, v1, v3
	v_lshrrev_b32_e32 v3, s18, v3
	v_mul_lo_u32 v4, v3, s16
	v_mul_hi_u32 v5, s20, v3
	s_cmp_lg_u32 s58, s62
	v_sub_u32_e32 v1, v1, v4
	v_add_u32_e32 v4, v3, v5
	v_mul_lo_u32 v5, v1, s8
	v_mul_lo_u32 v6, v1, s9
	v_lshrrev_b32_e32 v1, s21, v4
	v_mul_lo_u32 v4, v1, s19
	v_mul_hi_u32 v7, s23, v1
	v_sub_u32_e32 v3, v3, v4
	v_add_u32_e32 v4, v1, v7
	v_lshrrev_b32_e32 v4, s0, v4
	v_mul_hi_u32 v8, s2, v4
	v_mul_lo_u32 v9, v4, s22
	v_mul_lo_u32 v7, v3, s10
	;; [unrolled: 1-line block ×3, first 2 shown]
	v_sub_u32_e32 v9, v1, v9
	v_add_u32_e32 v1, v4, v8
	v_lshrrev_b32_e32 v1, s3, v1
	v_mul_lo_u32 v8, v1, s1
	v_mul_lo_u32 v10, v9, s12
	;; [unrolled: 1-line block ×3, first 2 shown]
	v_add3_u32 v2, v5, v2, v7
	v_sub_u32_e32 v4, v4, v8
	v_mul_lo_u32 v8, v4, s14
	v_mul_lo_u32 v4, v4, s15
	v_add3_u32 v0, v6, v0, v3
	v_add3_u32 v2, v10, v2, v8
	;; [unrolled: 1-line block ×3, first 2 shown]
	s_cbranch_scc1 .LBB9_6
	s_branch .LBB9_10
.LBB9_7:
                                        ; implicit-def: $vgpr2
                                        ; implicit-def: $vgpr0
	s_branch .LBB9_14
.LBB9_8:
	v_mov_b32_e32 v2, 0
	v_mov_b32_e32 v0, 0
	s_branch .LBB9_13
.LBB9_9:
	s_mov_b32 s58, 0
	v_mov_b32_e32 v2, 0
	v_mov_b32_e32 v0, 0
	v_mov_b32_e32 v1, v11
.LBB9_10:
	s_and_b32 s8, s59, 3
	s_cmp_eq_u32 s8, 0
	s_cbranch_scc1 .LBB9_13
; %bb.11:
	s_lshl_b32 s0, s58, 3
	s_add_u32 s0, s34, s0
	s_addc_u32 s1, s35, 0
	s_add_u32 s0, s0, 0xc4
	s_addc_u32 s1, s1, 0
	s_mul_i32 s2, s58, 12
	s_add_u32 s2, s34, s2
	s_addc_u32 s3, s35, 0
.LBB9_12:                               ; =>This Inner Loop Header: Depth=1
	s_load_dwordx2 s[10:11], s[2:3], 0x4
	s_load_dword s9, s[2:3], 0xc
	s_load_dwordx2 s[12:13], s[0:1], 0x0
	s_add_u32 s2, s2, 12
	s_addc_u32 s3, s3, 0
	s_waitcnt lgkmcnt(0)
	v_mul_hi_u32 v3, s11, v1
	s_add_u32 s0, s0, 8
	s_addc_u32 s1, s1, 0
	s_add_i32 s8, s8, -1
	v_add_u32_e32 v3, v1, v3
	v_lshrrev_b32_e32 v4, s9, v3
	v_mul_lo_u32 v3, v4, s10
	s_cmp_lg_u32 s8, 0
	v_sub_u32_e32 v1, v1, v3
	v_mad_u64_u32 v[2:3], s[10:11], v1, s12, v[2:3]
	v_mad_u64_u32 v[0:1], s[10:11], v1, s13, v[0:1]
	v_mov_b32_e32 v1, v4
	s_cbranch_scc1 .LBB9_12
.LBB9_13:
	s_cbranch_execnz .LBB9_16
.LBB9_14:
	s_waitcnt lgkmcnt(0)
	v_mul_hi_u32 v0, s37, v11
	s_andn2_b64 vcc, exec, s[46:47]
	v_add_u32_e32 v0, v11, v0
	v_lshrrev_b32_e32 v1, s38, v0
	v_mul_lo_u32 v0, v1, s36
	v_sub_u32_e32 v0, v11, v0
	v_mul_lo_u32 v2, v0, s28
	v_mul_lo_u32 v0, v0, s29
	s_cbranch_vccnz .LBB9_16
; %bb.15:
	v_mul_hi_u32 v3, s44, v1
	v_add_u32_e32 v3, v1, v3
	v_lshrrev_b32_e32 v3, s45, v3
	v_mul_lo_u32 v3, v3, s39
	v_sub_u32_e32 v1, v1, v3
	v_mad_u64_u32 v[2:3], s[0:1], v1, s30, v[2:3]
	v_mad_u64_u32 v[0:1], s[0:1], v1, s31, v[0:1]
.LBB9_16:
	s_waitcnt lgkmcnt(0)
	v_mov_b32_e32 v1, s27
	s_and_b32 s12, 0xffff, s74
	v_add_co_u32_e32 v0, vcc, s26, v0
	s_cmp_lt_i32 s12, 11
	v_addc_co_u32_e32 v1, vcc, 0, v1, vcc
	s_cbranch_scc1 .LBB9_23
; %bb.17:
	s_cmp_gt_i32 s12, 25
	s_cbranch_scc0 .LBB9_36
; %bb.18:
	s_cmp_gt_i32 s12, 28
	s_cbranch_scc0 .LBB9_39
	;; [unrolled: 3-line block ×4, first 2 shown]
; %bb.21:
	s_cmp_eq_u32 s12, 46
	s_mov_b64 s[8:9], 0
	s_cbranch_scc0 .LBB9_45
; %bb.22:
	global_load_dword v3, v[0:1], off
	s_mov_b64 s[0:1], -1
	s_mov_b64 s[2:3], 0
	s_waitcnt vmcnt(0)
	v_lshlrev_b32_e32 v3, 16, v3
	v_cvt_f64_f32_e32 v[3:4], v3
	s_branch .LBB9_47
.LBB9_23:
	s_mov_b64 s[2:3], 0
                                        ; implicit-def: $vgpr3_vgpr4
	s_mov_b64 s[0:1], 0
	s_cbranch_execnz .LBB9_220
.LBB9_24:
	s_andn2_b64 vcc, exec, s[0:1]
	s_cbranch_vccnz .LBB9_267
.LBB9_25:
	s_mov_b32 s0, 0
	s_mov_b32 s1, 0x40200000
	s_waitcnt vmcnt(0)
	v_cmp_le_f64_e64 s[0:1], |v[3:4]|, s[0:1]
                                        ; implicit-def: $vgpr0_vgpr1
	s_and_saveexec_b64 s[8:9], s[0:1]
	s_xor_b64 s[0:1], exec, s[8:9]
	s_cbranch_execz .LBB9_27
; %bb.26:
	v_fma_f64 v[0:1], |v[3:4]|, 0.5, -2.0
	v_mov_b32_e32 v5, 0x977da589
	v_mov_b32_e32 v6, 0x3c833362
	s_mov_b32 s9, 0xbc545cb7
	s_mov_b32 s8, 0x2134d0ef
	;; [unrolled: 1-line block ×4, first 2 shown]
	v_mov_b32_e32 v12, 0xfca7ab0c
	v_fma_f64 v[5:6], v[0:1], s[8:9], v[5:6]
	s_mov_b32 s9, 0x3c545cb7
	v_mov_b32_e32 v13, 0x3e928af3
	v_fma_f64 v[7:8], v[0:1], v[5:6], s[8:9]
	s_mov_b32 s8, 0x721ebbb4
	s_mov_b32 s9, 0xbcb184eb
	v_add_f64 v[7:8], v[7:8], s[8:9]
	s_mov_b32 s8, 0x93f65eba
	s_mov_b32 s9, 0x3cdee6d8
	v_fma_f64 v[5:6], v[0:1], v[7:8], -v[5:6]
	v_add_f64 v[5:6], v[5:6], s[8:9]
	s_mov_b32 s8, 0xc297fbeb
	s_mov_b32 s9, 0xbd0a5022
	v_fma_f64 v[7:8], v[0:1], v[5:6], -v[7:8]
	;; [unrolled: 4-line block ×20, first 2 shown]
	v_add_f64 v[7:8], v[7:8], s[8:9]
	s_mov_b32 s8, 0x652b82fe
	s_mov_b32 s9, 0x3ff71547
	v_mul_f64 v[9:10], |v[3:4]|, s[8:9]
	s_mov_b32 s8, 0xf3dde3dd
	s_mov_b32 s9, 0x3f859961
	v_fma_f64 v[5:6], v[0:1], v[7:8], -v[5:6]
	v_rndne_f64_e32 v[9:10], v[9:10]
	v_add_f64 v[5:6], v[5:6], s[8:9]
	s_mov_b32 s8, 0xfefa39ef
	s_mov_b32 s9, 0xbfe62e42
	v_fma_f64 v[3:4], v[9:10], s[8:9], |v[3:4]|
	s_mov_b32 s8, 0xf121b6f0
	s_mov_b32 s9, 0xbf984e9e
	v_fma_f64 v[7:8], v[0:1], v[5:6], -v[7:8]
	v_fma_f64 v[3:4], v[9:10], s[10:11], v[3:4]
	s_mov_b32 s10, 0x623fde64
	s_mov_b32 s11, 0x3ec71dee
	v_add_f64 v[7:8], v[7:8], s[8:9]
	s_mov_b32 s8, 0x6a5dcb37
	s_mov_b32 s9, 0x3e5ade15
	v_fma_f64 v[12:13], v[3:4], s[8:9], v[12:13]
	s_mov_b32 s8, 0xcea8a32d
	s_mov_b32 s9, 0x3fa93e8a
	v_fma_f64 v[5:6], v[0:1], v[7:8], -v[5:6]
	v_fma_f64 v[12:13], v[3:4], v[12:13], s[10:11]
	s_mov_b32 s10, 0x14761f6e
	s_mov_b32 s11, 0x3f2a01a0
	v_add_f64 v[5:6], v[5:6], s[8:9]
	s_mov_b32 s8, 0x7c89e6b0
	s_mov_b32 s9, 0x3efa0199
	v_fma_f64 v[12:13], v[3:4], v[12:13], s[8:9]
	;; [unrolled: 10-line block ×4, first 2 shown]
	s_mov_b32 s8, 0xc057cd8d
	s_mov_b32 s9, 0xbfd37feb
	v_fma_f64 v[7:8], v[0:1], v[5:6], -v[7:8]
	v_fma_f64 v[12:13], v[3:4], v[12:13], s[10:11]
	v_add_f64 v[7:8], v[7:8], s[8:9]
	s_mov_b32 s8, 11
	s_mov_b32 s9, 0x3fe00000
	v_fma_f64 v[12:13], v[3:4], v[12:13], s[8:9]
	s_mov_b32 s8, 0x9035a22a
	s_mov_b32 s9, 0x3fe5a84e
	v_fma_f64 v[0:1], v[0:1], v[7:8], -v[5:6]
	v_fma_f64 v[7:8], v[3:4], v[12:13], 1.0
	v_add_f64 v[0:1], v[0:1], s[8:9]
	v_fma_f64 v[3:4], v[3:4], v[7:8], 1.0
	v_add_f64 v[0:1], v[0:1], -v[5:6]
	v_cvt_i32_f64_e32 v5, v[9:10]
	v_ldexp_f64 v[3:4], v[3:4], v5
	v_mul_f64 v[0:1], v[0:1], 0.5
	v_mul_f64 v[0:1], v[3:4], v[0:1]
                                        ; implicit-def: $vgpr3_vgpr4
.LBB9_27:
	s_andn2_saveexec_b64 s[8:9], s[0:1]
	s_cbranch_execz .LBB9_29
; %bb.28:
	s_mov_b32 s0, 0
	v_and_b32_e32 v1, 0x7fffffff, v4
	v_mov_b32_e32 v0, v3
	s_mov_b32 s1, 0x40400000
	v_div_scale_f64 v[5:6], s[10:11], v[0:1], v[0:1], s[0:1]
	v_div_scale_f64 v[0:1], vcc, s[0:1], v[0:1], s[0:1]
	s_mov_b32 s10, 0x3b39803f
	s_mov_b32 s11, 0xbc7abc9e
	v_mov_b32_e32 v14, 0xfca7ab0c
	v_mov_b32_e32 v15, 0x3e928af3
	s_mov_b32 s12, 0
	s_brev_b32 s13, 8
	v_mov_b32_e32 v16, 0x100
	v_rcp_f64_e32 v[7:8], v[5:6]
	v_fma_f64 v[9:10], -v[5:6], v[7:8], 1.0
	v_fma_f64 v[7:8], v[7:8], v[9:10], v[7:8]
	v_fma_f64 v[9:10], -v[5:6], v[7:8], 1.0
	v_fma_f64 v[7:8], v[7:8], v[9:10], v[7:8]
	v_mul_f64 v[9:10], v[0:1], v[7:8]
	v_fma_f64 v[0:1], -v[5:6], v[9:10], v[0:1]
	v_mov_b32_e32 v5, 0x66119130
	v_mov_b32_e32 v6, 0xbc5646da
	v_div_fmas_f64 v[0:1], v[0:1], v[7:8], v[9:10]
	v_cmp_lt_f64_e64 vcc, |v[3:4]|, s[12:13]
	v_cndmask_b32_e32 v16, 0, v16, vcc
	v_ldexp_f64 v[16:17], |v[3:4]|, v16
	v_div_fixup_f64 v[0:1], v[0:1], |v[3:4]|, s[0:1]
	s_mov_b32 s1, 0xbc60adb7
	s_mov_b32 s0, 0x54ca8b19
	v_rsq_f64_e32 v[18:19], v[16:17]
	v_add_f64 v[0:1], v[0:1], -2.0
	v_fma_f64 v[5:6], v[0:1], s[0:1], v[5:6]
	s_mov_b32 s1, 0x3c60adb7
	v_mul_f64 v[20:21], v[16:17], v[18:19]
	v_mul_f64 v[18:19], v[18:19], 0.5
	v_fma_f64 v[7:8], v[0:1], v[5:6], s[0:1]
	s_mov_b32 s0, 0x12d98421
	s_mov_b32 s1, 0x3c89be18
	v_fma_f64 v[22:23], -v[18:19], v[20:21], 0.5
	v_add_f64 v[7:8], v[7:8], s[0:1]
	s_mov_b32 s0, 0x76041cd
	s_mov_b32 s1, 0x3c83f3dd
	v_fma_f64 v[20:21], v[20:21], v[22:23], v[20:21]
	v_fma_f64 v[18:19], v[18:19], v[22:23], v[18:19]
	v_fma_f64 v[5:6], v[0:1], v[7:8], -v[5:6]
	v_fma_f64 v[22:23], -v[20:21], v[20:21], v[16:17]
	v_add_f64 v[5:6], v[5:6], s[0:1]
	s_mov_b32 s0, 0xabd21fe4
	s_mov_b32 s1, 0xbcb4600b
	v_fma_f64 v[7:8], v[0:1], v[5:6], -v[7:8]
	v_add_f64 v[7:8], v[7:8], s[0:1]
	s_mov_b32 s0, 0xd908de38
	s_mov_b32 s1, 0xbcb8aee7
	v_fma_f64 v[5:6], v[0:1], v[7:8], -v[5:6]
	;; [unrolled: 4-line block ×14, first 2 shown]
	v_add_f64 v[9:10], v[5:6], s[0:1]
	s_mov_b32 s0, 0x652b82fe
	s_mov_b32 s1, 0x3ff71547
	v_mul_f64 v[5:6], |v[3:4]|, s[0:1]
	s_mov_b32 s0, 0xa9225b87
	s_mov_b32 s1, 0x3e2d2c64
	v_fma_f64 v[7:8], v[0:1], v[9:10], -v[7:8]
	v_rndne_f64_e32 v[5:6], v[5:6]
	v_add_f64 v[12:13], v[7:8], s[0:1]
	s_mov_b32 s0, 0xfefa39ef
	s_mov_b32 s1, 0xbfe62e42
	v_fma_f64 v[7:8], v[5:6], s[0:1], |v[3:4]|
	s_mov_b32 s0, 0x80d6d56d
	s_mov_b32 s1, 0x3e585692
	v_fma_f64 v[9:10], v[0:1], v[12:13], -v[9:10]
	v_fma_f64 v[7:8], v[5:6], s[10:11], v[7:8]
	s_mov_b32 s10, 0x623fde64
	s_mov_b32 s11, 0x3ec71dee
	v_add_f64 v[9:10], v[9:10], s[0:1]
	s_mov_b32 s0, 0x6a5dcb37
	s_mov_b32 s1, 0x3e5ade15
	v_fma_f64 v[14:15], v[7:8], s[0:1], v[14:15]
	s_mov_b32 s0, 0xd9cd616e
	s_mov_b32 s1, 0x3e8b8007
	v_fma_f64 v[12:13], v[0:1], v[9:10], -v[12:13]
	v_fma_f64 v[14:15], v[7:8], v[14:15], s[10:11]
	s_mov_b32 s10, 0x14761f6e
	s_mov_b32 s11, 0x3f2a01a0
	v_add_f64 v[12:13], v[12:13], s[0:1]
	s_mov_b32 s0, 0x7c89e6b0
	s_mov_b32 s1, 0x3efa0199
	v_fma_f64 v[14:15], v[7:8], v[14:15], s[0:1]
	;; [unrolled: 10-line block ×4, first 2 shown]
	s_mov_b32 s0, 0xa2e59049
	s_mov_b32 s1, 0x3f6b998c
	v_fma_f64 v[9:10], v[0:1], v[12:13], -v[9:10]
	v_fma_f64 v[14:15], v[7:8], v[14:15], s[10:11]
	v_add_f64 v[9:10], v[9:10], s[0:1]
	s_mov_b32 s0, 11
	s_mov_b32 s1, 0x3fe00000
	v_fma_f64 v[14:15], v[7:8], v[14:15], s[0:1]
	s_mov_b32 s0, 0xaca809cb
	s_mov_b32 s1, 0x3fe9be62
	v_fma_f64 v[0:1], v[0:1], v[9:10], -v[12:13]
	v_fma_f64 v[9:10], v[22:23], v[18:19], v[20:21]
	v_fma_f64 v[14:15], v[7:8], v[14:15], 1.0
	v_add_f64 v[0:1], v[0:1], s[0:1]
	v_fma_f64 v[20:21], -v[9:10], v[9:10], v[16:17]
	s_mov_b32 s0, 0
	v_fma_f64 v[7:8], v[7:8], v[14:15], 1.0
	s_mov_b32 s1, 0x40900000
	v_cmp_ngt_f64_e64 s[0:1], |v[3:4]|, s[0:1]
	v_mov_b32_e32 v3, 0xffffff80
	v_cndmask_b32_e32 v3, 0, v3, vcc
	v_add_f64 v[0:1], v[0:1], -v[12:13]
	v_cvt_i32_f64_e32 v12, v[5:6]
	v_fma_f64 v[5:6], v[20:21], v[18:19], v[9:10]
	v_mov_b32_e32 v9, 0x7ff00000
	v_mov_b32_e32 v10, 0x260
	v_ldexp_f64 v[7:8], v[7:8], v12
	v_cmp_class_f64_e32 vcc, v[16:17], v10
	v_mul_f64 v[0:1], v[0:1], 0.5
	v_ldexp_f64 v[3:4], v[5:6], v3
	v_cndmask_b32_e64 v6, v9, v8, s[0:1]
	v_cndmask_b32_e64 v5, 0, v7, s[0:1]
	v_mul_f64 v[0:1], v[5:6], v[0:1]
	v_cndmask_b32_e32 v4, v4, v17, vcc
	v_cndmask_b32_e32 v3, v3, v16, vcc
	v_div_scale_f64 v[5:6], s[0:1], v[3:4], v[3:4], v[0:1]
	v_div_scale_f64 v[12:13], vcc, v[0:1], v[3:4], v[0:1]
	v_rcp_f64_e32 v[7:8], v[5:6]
	v_fma_f64 v[9:10], -v[5:6], v[7:8], 1.0
	v_fma_f64 v[7:8], v[7:8], v[9:10], v[7:8]
	v_fma_f64 v[9:10], -v[5:6], v[7:8], 1.0
	v_fma_f64 v[7:8], v[7:8], v[9:10], v[7:8]
	v_mul_f64 v[9:10], v[12:13], v[7:8]
	v_fma_f64 v[5:6], -v[5:6], v[9:10], v[12:13]
	v_div_fmas_f64 v[5:6], v[5:6], v[7:8], v[9:10]
	v_div_fixup_f64 v[0:1], v[5:6], v[3:4], v[0:1]
.LBB9_29:
	s_or_b64 exec, exec, s[8:9]
	v_mov_b32_e32 v3, s25
	s_and_b32 s14, s73, 0xff
	v_add_co_u32_e32 v4, vcc, s24, v2
	s_cmp_lt_i32 s14, 11
	v_addc_co_u32_e32 v5, vcc, 0, v3, vcc
	s_cbranch_scc1 .LBB9_37
; %bb.30:
	s_and_b32 s15, 0xffff, s14
	s_cmp_gt_i32 s15, 25
	s_cbranch_scc0 .LBB9_40
; %bb.31:
	s_cmp_gt_i32 s15, 28
	s_cbranch_scc0 .LBB9_42
; %bb.32:
	;; [unrolled: 3-line block ×4, first 2 shown]
	s_mov_b64 s[10:11], 0
	s_mov_b64 s[0:1], -1
	s_cmp_eq_u32 s15, 46
	s_mov_b64 s[8:9], 0
	s_cbranch_scc0 .LBB9_51
; %bb.35:
	v_cvt_f32_f64_e32 v2, v[0:1]
	s_movk_i32 s0, 0x7fff
	v_mov_b32_e32 v3, 0x7fc0
	s_mov_b64 s[8:9], -1
	v_bfe_u32 v6, v2, 16, 1
	v_cmp_o_f32_e32 vcc, v2, v2
	v_add3_u32 v2, v2, v6, s0
	v_cndmask_b32_sdwa v2, v3, v2, vcc dst_sel:DWORD dst_unused:UNUSED_PAD src0_sel:DWORD src1_sel:WORD_1
	global_store_dword v[4:5], v2, off
	s_mov_b64 s[0:1], 0
	s_branch .LBB9_51
.LBB9_36:
	s_mov_b64 s[2:3], 0
	s_mov_b64 s[0:1], 0
                                        ; implicit-def: $vgpr3_vgpr4
	s_cbranch_execnz .LBB9_187
	s_branch .LBB9_219
.LBB9_37:
	s_mov_b64 s[0:1], 0
	s_mov_b64 s[8:9], 0
	s_cbranch_execnz .LBB9_120
.LBB9_38:
	s_andn2_b64 vcc, exec, s[8:9]
	s_cbranch_vccnz .LBB9_268
	s_branch .LBB9_158
.LBB9_39:
	s_mov_b64 s[8:9], -1
	s_mov_b64 s[2:3], 0
	s_mov_b64 s[0:1], 0
                                        ; implicit-def: $vgpr3_vgpr4
	s_branch .LBB9_166
.LBB9_40:
	s_mov_b64 s[10:11], -1
	s_mov_b64 s[0:1], 0
	s_mov_b64 s[8:9], 0
	s_branch .LBB9_78
.LBB9_41:
	s_mov_b64 s[8:9], -1
	s_mov_b64 s[2:3], 0
	s_mov_b64 s[0:1], 0
                                        ; implicit-def: $vgpr3_vgpr4
	s_branch .LBB9_161
.LBB9_42:
	s_mov_b64 s[10:11], -1
	s_mov_b64 s[0:1], 0
	s_mov_b64 s[8:9], 0
	s_branch .LBB9_61
.LBB9_43:
	s_mov_b64 s[8:9], -1
	s_mov_b64 s[2:3], 0
	s_branch .LBB9_46
.LBB9_44:
	s_mov_b64 s[10:11], -1
	s_mov_b64 s[0:1], 0
	s_mov_b64 s[8:9], 0
	s_branch .LBB9_57
.LBB9_45:
	s_mov_b64 s[2:3], -1
.LBB9_46:
	s_mov_b64 s[0:1], 0
                                        ; implicit-def: $vgpr3_vgpr4
.LBB9_47:
	s_and_b64 vcc, exec, s[8:9]
	s_cbranch_vccz .LBB9_160
; %bb.48:
	s_cmp_eq_u32 s12, 44
	s_cbranch_scc0 .LBB9_159
; %bb.49:
	global_load_ubyte v5, v[0:1], off
	s_movk_i32 s2, 0xff
	v_bfrev_b32_e32 v6, 4
	v_mov_b32_e32 v7, 0x7ff80000
	v_bfrev_b32_e32 v8, 28
	s_mov_b64 s[0:1], -1
	s_waitcnt vmcnt(0)
	v_lshlrev_b32_e32 v3, 23, v5
	v_cvt_f64_f32_e32 v[3:4], v3
	v_cmp_ne_u32_e32 vcc, s2, v5
	s_mov_b64 s[2:3], 0
	v_cndmask_b32_e32 v3, v6, v3, vcc
	v_cndmask_b32_e32 v4, v7, v4, vcc
	v_cmp_ne_u32_e32 vcc, 0, v5
	v_cndmask_b32_e32 v4, v8, v4, vcc
	v_cndmask_b32_e32 v3, 0, v3, vcc
	s_branch .LBB9_160
.LBB9_50:
	s_mov_b64 s[10:11], -1
	s_mov_b64 s[0:1], 0
	s_mov_b64 s[8:9], 0
.LBB9_51:
	s_and_b64 vcc, exec, s[10:11]
	s_cbranch_vccz .LBB9_56
; %bb.52:
	s_cmp_eq_u32 s15, 44
	s_mov_b64 s[0:1], -1
	s_cbranch_scc0 .LBB9_56
; %bb.53:
	v_cvt_f32_f64_e32 v2, v[0:1]
	s_movk_i32 s0, 0xff
	v_mov_b32_e32 v6, 0xff
	v_bfe_u32 v3, v2, 23, 8
	v_cmp_ne_u32_e32 vcc, s0, v3
	s_and_saveexec_b64 s[8:9], vcc
; %bb.54:
	s_mov_b32 s0, 0x3fffff
	v_lshrrev_b32_e32 v6, 23, v2
	v_and_b32_e32 v7, 0x400000, v2
	v_and_or_b32 v2, v2, s0, v3
	v_cmp_ne_u32_e32 vcc, 0, v7
	v_cmp_ne_u32_e64 s[0:1], 0, v2
	s_and_b64 s[0:1], vcc, s[0:1]
	v_cndmask_b32_e64 v2, 0, 1, s[0:1]
	v_add_u32_e32 v6, v6, v2
; %bb.55:
	s_or_b64 exec, exec, s[8:9]
	s_mov_b64 s[8:9], -1
	s_mov_b64 s[0:1], 0
	global_store_byte v[4:5], v6, off
.LBB9_56:
	s_mov_b64 s[10:11], 0
.LBB9_57:
	s_and_b64 vcc, exec, s[10:11]
	s_cbranch_vccz .LBB9_60
; %bb.58:
	s_cmp_eq_u32 s15, 29
	s_mov_b64 s[0:1], -1
	s_cbranch_scc0 .LBB9_60
; %bb.59:
	v_trunc_f64_e32 v[2:3], v[0:1]
	s_movk_i32 s0, 0xffe0
	s_mov_b64 s[8:9], -1
	s_mov_b64 s[10:11], 0
	v_ldexp_f64 v[6:7], v[2:3], s0
	s_mov_b32 s0, 0
	s_mov_b32 s1, 0xc1f00000
	v_floor_f64_e32 v[6:7], v[6:7]
	v_fma_f64 v[2:3], v[6:7], s[0:1], v[2:3]
	v_cvt_u32_f64_e32 v7, v[6:7]
	s_mov_b64 s[0:1], 0
	v_cvt_u32_f64_e32 v6, v[2:3]
	global_store_dwordx2 v[4:5], v[6:7], off
	s_branch .LBB9_61
.LBB9_60:
	s_mov_b64 s[10:11], 0
.LBB9_61:
	s_and_b64 vcc, exec, s[10:11]
	s_cbranch_vccz .LBB9_77
; %bb.62:
	s_cmp_lt_i32 s15, 27
	s_mov_b64 s[8:9], -1
	s_cbranch_scc1 .LBB9_68
; %bb.63:
	v_cvt_u32_f64_e32 v2, v[0:1]
	s_cmp_gt_i32 s15, 27
	s_cbranch_scc0 .LBB9_65
; %bb.64:
	s_mov_b64 s[8:9], 0
	global_store_dword v[4:5], v2, off
.LBB9_65:
	s_andn2_b64 vcc, exec, s[8:9]
	s_cbranch_vccnz .LBB9_67
; %bb.66:
	global_store_short v[4:5], v2, off
.LBB9_67:
	s_mov_b64 s[8:9], 0
.LBB9_68:
	s_andn2_b64 vcc, exec, s[8:9]
	s_cbranch_vccnz .LBB9_76
; %bb.69:
	v_cvt_f32_f64_e32 v2, v[0:1]
	s_mov_b32 s8, 0x43800000
	v_mov_b32_e32 v6, 0x80
	v_and_b32_e32 v3, 0x7fffffff, v2
	v_cmp_gt_u32_e32 vcc, s8, v3
	s_and_saveexec_b64 s[8:9], vcc
	s_cbranch_execz .LBB9_75
; %bb.70:
	s_mov_b32 s10, 0x3bffffff
	v_cmp_lt_u32_e32 vcc, s10, v3
	s_mov_b64 s[10:11], 0
                                        ; implicit-def: $vgpr3
	s_and_saveexec_b64 s[12:13], vcc
	s_xor_b64 s[12:13], exec, s[12:13]
	s_cbranch_execz .LBB9_315
; %bb.71:
	v_bfe_u32 v3, v2, 20, 1
	s_mov_b32 s16, 0x487ffff
	v_add3_u32 v3, v2, v3, s16
	s_mov_b64 s[10:11], exec
	v_lshrrev_b32_e32 v3, 20, v3
	s_andn2_saveexec_b64 s[12:13], s[12:13]
	s_cbranch_execnz .LBB9_316
.LBB9_72:
	s_or_b64 exec, exec, s[12:13]
	v_mov_b32_e32 v6, 0
	s_and_saveexec_b64 s[12:13], s[10:11]
.LBB9_73:
	v_lshrrev_b32_e32 v2, 24, v2
	s_movk_i32 s10, 0x80
	v_and_or_b32 v6, v2, s10, v3
.LBB9_74:
	s_or_b64 exec, exec, s[12:13]
.LBB9_75:
	s_or_b64 exec, exec, s[8:9]
	global_store_byte v[4:5], v6, off
.LBB9_76:
	s_mov_b64 s[8:9], -1
.LBB9_77:
	s_mov_b64 s[10:11], 0
.LBB9_78:
	s_and_b64 vcc, exec, s[10:11]
	s_cbranch_vccz .LBB9_119
; %bb.79:
	s_cmp_gt_i32 s15, 22
	s_mov_b64 s[10:11], -1
	s_cbranch_scc0 .LBB9_111
; %bb.80:
	s_cmp_lt_i32 s15, 24
	s_mov_b64 s[8:9], -1
	s_cbranch_scc1 .LBB9_100
; %bb.81:
	s_cmp_gt_i32 s15, 24
	s_cbranch_scc0 .LBB9_89
; %bb.82:
	v_cvt_f32_f64_e32 v2, v[0:1]
	s_mov_b32 s8, 0x47800000
	v_mov_b32_e32 v6, 0x80
	v_and_b32_e32 v3, 0x7fffffff, v2
	v_cmp_gt_u32_e32 vcc, s8, v3
	s_and_saveexec_b64 s[8:9], vcc
	s_cbranch_execz .LBB9_88
; %bb.83:
	s_mov_b32 s10, 0x37ffffff
	v_cmp_lt_u32_e32 vcc, s10, v3
	s_mov_b64 s[10:11], 0
                                        ; implicit-def: $vgpr3
	s_and_saveexec_b64 s[12:13], vcc
	s_xor_b64 s[12:13], exec, s[12:13]
	s_cbranch_execz .LBB9_319
; %bb.84:
	v_bfe_u32 v3, v2, 21, 1
	s_mov_b32 s16, 0x88fffff
	v_add3_u32 v3, v2, v3, s16
	s_mov_b64 s[10:11], exec
	v_lshrrev_b32_e32 v3, 21, v3
	s_andn2_saveexec_b64 s[12:13], s[12:13]
	s_cbranch_execnz .LBB9_320
.LBB9_85:
	s_or_b64 exec, exec, s[12:13]
	v_mov_b32_e32 v6, 0
	s_and_saveexec_b64 s[12:13], s[10:11]
.LBB9_86:
	v_lshrrev_b32_e32 v2, 24, v2
	s_movk_i32 s10, 0x80
	v_and_or_b32 v6, v2, s10, v3
.LBB9_87:
	s_or_b64 exec, exec, s[12:13]
.LBB9_88:
	s_or_b64 exec, exec, s[8:9]
	s_mov_b64 s[8:9], 0
	global_store_byte v[4:5], v6, off
.LBB9_89:
	s_and_b64 vcc, exec, s[8:9]
	s_cbranch_vccz .LBB9_99
; %bb.90:
	v_cvt_f32_f64_e32 v2, v[0:1]
	s_mov_b32 s8, 0x43f00000
                                        ; implicit-def: $vgpr3
	v_and_b32_e32 v6, 0x7fffffff, v2
	v_cmp_gt_u32_e32 vcc, s8, v6
	s_and_saveexec_b64 s[8:9], vcc
	s_xor_b64 s[8:9], exec, s[8:9]
	s_cbranch_execz .LBB9_96
; %bb.91:
	s_mov_b32 s10, 0x3c7fffff
	v_cmp_lt_u32_e32 vcc, s10, v6
                                        ; implicit-def: $vgpr3
	s_and_saveexec_b64 s[10:11], vcc
	s_xor_b64 s[10:11], exec, s[10:11]
; %bb.92:
	v_bfe_u32 v3, v2, 20, 1
	s_mov_b32 s12, 0x407ffff
	v_add3_u32 v3, v2, v3, s12
	v_lshrrev_b32_e32 v6, 20, v3
	v_and_b32_e32 v3, 0xff00000, v3
	s_mov_b32 s12, 0x7f00000
	v_mov_b32_e32 v7, 0x7e
	v_cmp_ne_u32_e32 vcc, s12, v3
	v_cndmask_b32_e32 v3, v7, v6, vcc
; %bb.93:
	s_andn2_saveexec_b64 s[10:11], s[10:11]
; %bb.94:
	s_mov_b32 s12, 0x46800000
	v_add_f32_e64 v3, |v2|, s12
; %bb.95:
	s_or_b64 exec, exec, s[10:11]
                                        ; implicit-def: $vgpr6
.LBB9_96:
	s_andn2_saveexec_b64 s[8:9], s[8:9]
; %bb.97:
	s_mov_b32 s10, 0x7f800000
	v_mov_b32_e32 v3, 0x7e
	v_mov_b32_e32 v7, 0x7f
	v_cmp_lt_u32_e32 vcc, s10, v6
	v_cndmask_b32_e32 v3, v3, v7, vcc
; %bb.98:
	s_or_b64 exec, exec, s[8:9]
	v_lshrrev_b32_e32 v2, 24, v2
	s_movk_i32 s8, 0x80
	v_and_or_b32 v2, v2, s8, v3
	global_store_byte v[4:5], v2, off
.LBB9_99:
	s_mov_b64 s[8:9], 0
.LBB9_100:
	s_andn2_b64 vcc, exec, s[8:9]
	s_cbranch_vccnz .LBB9_110
; %bb.101:
	v_cvt_f32_f64_e32 v2, v[0:1]
	s_mov_b32 s8, 0x47800000
                                        ; implicit-def: $vgpr3
	v_and_b32_e32 v6, 0x7fffffff, v2
	v_cmp_gt_u32_e32 vcc, s8, v6
	s_and_saveexec_b64 s[8:9], vcc
	s_xor_b64 s[8:9], exec, s[8:9]
	s_cbranch_execz .LBB9_107
; %bb.102:
	s_mov_b32 s10, 0x387fffff
	v_cmp_lt_u32_e32 vcc, s10, v6
                                        ; implicit-def: $vgpr3
	s_and_saveexec_b64 s[10:11], vcc
	s_xor_b64 s[10:11], exec, s[10:11]
; %bb.103:
	v_bfe_u32 v3, v2, 21, 1
	s_mov_b32 s12, 0x80fffff
	v_add3_u32 v3, v2, v3, s12
	v_lshrrev_b32_e32 v3, 21, v3
; %bb.104:
	s_andn2_saveexec_b64 s[10:11], s[10:11]
; %bb.105:
	s_mov_b32 s12, 0x43000000
	v_add_f32_e64 v3, |v2|, s12
; %bb.106:
	s_or_b64 exec, exec, s[10:11]
                                        ; implicit-def: $vgpr6
.LBB9_107:
	s_andn2_saveexec_b64 s[8:9], s[8:9]
; %bb.108:
	s_mov_b32 s10, 0x7f800000
	v_mov_b32_e32 v3, 0x7c
	v_mov_b32_e32 v7, 0x7f
	v_cmp_lt_u32_e32 vcc, s10, v6
	v_cndmask_b32_e32 v3, v3, v7, vcc
; %bb.109:
	s_or_b64 exec, exec, s[8:9]
	v_lshrrev_b32_e32 v2, 24, v2
	s_movk_i32 s8, 0x80
	v_and_or_b32 v2, v2, s8, v3
	global_store_byte v[4:5], v2, off
.LBB9_110:
	s_mov_b64 s[10:11], 0
	s_mov_b64 s[8:9], -1
.LBB9_111:
	s_andn2_b64 vcc, exec, s[10:11]
	s_cbranch_vccnz .LBB9_119
; %bb.112:
	s_cmp_gt_i32 s15, 14
	s_mov_b64 s[10:11], -1
	s_cbranch_scc0 .LBB9_116
; %bb.113:
	s_cmp_eq_u32 s15, 15
	s_mov_b64 s[0:1], -1
	s_cbranch_scc0 .LBB9_115
; %bb.114:
	v_cvt_f32_f64_e32 v2, v[0:1]
	s_movk_i32 s0, 0x7fff
	v_mov_b32_e32 v3, 0x7fc0
	s_mov_b64 s[8:9], -1
	v_bfe_u32 v6, v2, 16, 1
	v_cmp_o_f32_e32 vcc, v2, v2
	v_add3_u32 v2, v2, v6, s0
	v_cndmask_b32_sdwa v2, v3, v2, vcc dst_sel:DWORD dst_unused:UNUSED_PAD src0_sel:DWORD src1_sel:WORD_1
	global_store_short v[4:5], v2, off
	s_mov_b64 s[0:1], 0
.LBB9_115:
	s_mov_b64 s[10:11], 0
.LBB9_116:
	s_and_b64 vcc, exec, s[10:11]
	s_cbranch_vccz .LBB9_119
; %bb.117:
	s_cmp_eq_u32 s15, 11
	s_mov_b64 s[0:1], -1
	s_cbranch_scc0 .LBB9_119
; %bb.118:
	v_cmp_neq_f64_e32 vcc, 0, v[0:1]
	s_mov_b64 s[0:1], 0
	s_mov_b64 s[8:9], -1
	v_cndmask_b32_e64 v2, 0, 1, vcc
	global_store_byte v[4:5], v2, off
.LBB9_119:
	s_branch .LBB9_38
.LBB9_120:
	s_and_b32 s10, 0xffff, s14
	s_cmp_lt_i32 s10, 5
	s_mov_b64 s[8:9], -1
	s_cbranch_scc1 .LBB9_141
; %bb.121:
	s_cmp_lt_i32 s10, 8
	s_cbranch_scc1 .LBB9_131
; %bb.122:
	s_cmp_lt_i32 s10, 9
	s_cbranch_scc1 .LBB9_128
; %bb.123:
	s_cmp_gt_i32 s10, 9
	s_cbranch_scc0 .LBB9_125
; %bb.124:
	v_mov_b32_e32 v2, 0
	v_mov_b32_e32 v3, v2
	global_store_dwordx4 v[4:5], v[0:3], off
	s_mov_b64 s[8:9], 0
.LBB9_125:
	s_andn2_b64 vcc, exec, s[8:9]
	s_cbranch_vccnz .LBB9_127
; %bb.126:
	v_cvt_f32_f64_e32 v2, v[0:1]
	v_mov_b32_e32 v3, 0
	global_store_dwordx2 v[4:5], v[2:3], off
.LBB9_127:
	s_mov_b64 s[8:9], 0
.LBB9_128:
	s_andn2_b64 vcc, exec, s[8:9]
	s_cbranch_vccnz .LBB9_130
; %bb.129:
	s_movk_i32 s8, 0x1ff
	v_and_or_b32 v2, v1, s8, v0
	v_cmp_ne_u32_e32 vcc, 0, v2
	v_cndmask_b32_e64 v2, 0, 1, vcc
	v_lshrrev_b32_e32 v3, 8, v1
	s_movk_i32 s8, 0xffe
	v_bfe_u32 v6, v1, 20, 11
	v_and_or_b32 v2, v3, s8, v2
	v_sub_u32_e32 v7, 0x3f1, v6
	v_or_b32_e32 v3, 0x1000, v2
	v_med3_i32 v7, v7, 0, 13
	v_lshrrev_b32_e32 v8, v7, v3
	v_lshlrev_b32_e32 v7, v7, v8
	v_cmp_ne_u32_e32 vcc, v7, v3
	v_cndmask_b32_e64 v3, 0, 1, vcc
	v_add_u32_e32 v6, 0xfffffc10, v6
	v_or_b32_e32 v3, v8, v3
	v_lshl_or_b32 v7, v6, 12, v2
	v_cmp_gt_i32_e32 vcc, 1, v6
	v_cndmask_b32_e32 v3, v7, v3, vcc
	v_and_b32_e32 v7, 7, v3
	v_cmp_lt_i32_e32 vcc, 5, v7
	v_cndmask_b32_e64 v8, 0, 1, vcc
	v_cmp_eq_u32_e32 vcc, 3, v7
	v_cndmask_b32_e64 v7, 0, 1, vcc
	v_or_b32_e32 v7, v7, v8
	v_lshrrev_b32_e32 v3, 2, v3
	v_add_u32_e32 v3, v3, v7
	v_mov_b32_e32 v7, 0x7c00
	v_cmp_gt_i32_e32 vcc, 31, v6
	v_cndmask_b32_e32 v3, v7, v3, vcc
	v_mov_b32_e32 v8, 0x7e00
	v_cmp_ne_u32_e32 vcc, 0, v2
	s_movk_i32 s8, 0x40f
	v_cndmask_b32_e32 v2, v7, v8, vcc
	v_cmp_eq_u32_e32 vcc, s8, v6
	v_cndmask_b32_e32 v2, v3, v2, vcc
	v_lshrrev_b32_e32 v3, 16, v1
	s_mov_b32 s8, 0x8000
	v_and_or_b32 v2, v3, s8, v2
	v_and_b32_e32 v2, 0xffff, v2
	global_store_dword v[4:5], v2, off
.LBB9_130:
	s_mov_b64 s[8:9], 0
.LBB9_131:
	s_andn2_b64 vcc, exec, s[8:9]
	s_cbranch_vccnz .LBB9_140
; %bb.132:
	s_cmp_lt_i32 s10, 6
	s_mov_b64 s[8:9], -1
	s_cbranch_scc1 .LBB9_138
; %bb.133:
	s_cmp_gt_i32 s10, 6
	s_cbranch_scc0 .LBB9_135
; %bb.134:
	global_store_dwordx2 v[4:5], v[0:1], off
	s_mov_b64 s[8:9], 0
.LBB9_135:
	s_andn2_b64 vcc, exec, s[8:9]
	s_cbranch_vccnz .LBB9_137
; %bb.136:
	v_cvt_f32_f64_e32 v2, v[0:1]
	global_store_dword v[4:5], v2, off
.LBB9_137:
	s_mov_b64 s[8:9], 0
.LBB9_138:
	s_andn2_b64 vcc, exec, s[8:9]
	s_cbranch_vccnz .LBB9_140
; %bb.139:
	s_movk_i32 s8, 0x1ff
	v_and_or_b32 v2, v1, s8, v0
	v_cmp_ne_u32_e32 vcc, 0, v2
	v_cndmask_b32_e64 v2, 0, 1, vcc
	v_lshrrev_b32_e32 v3, 8, v1
	s_movk_i32 s8, 0xffe
	v_bfe_u32 v6, v1, 20, 11
	v_and_or_b32 v2, v3, s8, v2
	v_sub_u32_e32 v7, 0x3f1, v6
	v_or_b32_e32 v3, 0x1000, v2
	v_med3_i32 v7, v7, 0, 13
	v_lshrrev_b32_e32 v8, v7, v3
	v_lshlrev_b32_e32 v7, v7, v8
	v_cmp_ne_u32_e32 vcc, v7, v3
	v_cndmask_b32_e64 v3, 0, 1, vcc
	v_add_u32_e32 v6, 0xfffffc10, v6
	v_or_b32_e32 v3, v8, v3
	v_lshl_or_b32 v7, v6, 12, v2
	v_cmp_gt_i32_e32 vcc, 1, v6
	v_cndmask_b32_e32 v3, v7, v3, vcc
	v_and_b32_e32 v7, 7, v3
	v_cmp_lt_i32_e32 vcc, 5, v7
	v_cndmask_b32_e64 v8, 0, 1, vcc
	v_cmp_eq_u32_e32 vcc, 3, v7
	v_cndmask_b32_e64 v7, 0, 1, vcc
	v_or_b32_e32 v7, v7, v8
	v_lshrrev_b32_e32 v3, 2, v3
	v_add_u32_e32 v3, v3, v7
	v_mov_b32_e32 v7, 0x7c00
	v_cmp_gt_i32_e32 vcc, 31, v6
	v_cndmask_b32_e32 v3, v7, v3, vcc
	v_mov_b32_e32 v8, 0x7e00
	v_cmp_ne_u32_e32 vcc, 0, v2
	s_movk_i32 s8, 0x40f
	v_cndmask_b32_e32 v2, v7, v8, vcc
	v_cmp_eq_u32_e32 vcc, s8, v6
	v_cndmask_b32_e32 v2, v3, v2, vcc
	v_lshrrev_b32_e32 v3, 16, v1
	s_mov_b32 s8, 0x8000
	v_and_or_b32 v2, v3, s8, v2
	global_store_short v[4:5], v2, off
.LBB9_140:
	s_mov_b64 s[8:9], 0
.LBB9_141:
	s_andn2_b64 vcc, exec, s[8:9]
	s_cbranch_vccnz .LBB9_157
; %bb.142:
	s_cmp_lt_i32 s10, 2
	s_mov_b64 s[8:9], -1
	s_cbranch_scc1 .LBB9_152
; %bb.143:
	s_cmp_lt_i32 s10, 3
	s_cbranch_scc1 .LBB9_149
; %bb.144:
	s_cmp_gt_i32 s10, 3
	s_cbranch_scc0 .LBB9_146
; %bb.145:
	v_trunc_f64_e32 v[2:3], v[0:1]
	s_movk_i32 s8, 0xffe0
	v_ldexp_f64 v[6:7], v[2:3], s8
	s_mov_b32 s8, 0
	s_mov_b32 s9, 0xc1f00000
	v_floor_f64_e32 v[6:7], v[6:7]
	v_fma_f64 v[2:3], v[6:7], s[8:9], v[2:3]
	v_cvt_i32_f64_e32 v7, v[6:7]
	s_mov_b64 s[8:9], 0
	v_cvt_u32_f64_e32 v6, v[2:3]
	global_store_dwordx2 v[4:5], v[6:7], off
.LBB9_146:
	s_andn2_b64 vcc, exec, s[8:9]
	s_cbranch_vccnz .LBB9_148
; %bb.147:
	v_cvt_i32_f64_e32 v2, v[0:1]
	global_store_dword v[4:5], v2, off
.LBB9_148:
	s_mov_b64 s[8:9], 0
.LBB9_149:
	s_andn2_b64 vcc, exec, s[8:9]
	s_cbranch_vccnz .LBB9_151
; %bb.150:
	v_cvt_i32_f64_e32 v2, v[0:1]
	global_store_short v[4:5], v2, off
.LBB9_151:
	s_mov_b64 s[8:9], 0
.LBB9_152:
	s_andn2_b64 vcc, exec, s[8:9]
	s_cbranch_vccnz .LBB9_157
; %bb.153:
	s_cmp_gt_i32 s10, 0
	s_mov_b64 s[8:9], -1
	s_cbranch_scc0 .LBB9_155
; %bb.154:
	v_cvt_i32_f64_e32 v2, v[0:1]
	s_mov_b64 s[8:9], 0
	global_store_byte v[4:5], v2, off
.LBB9_155:
	s_andn2_b64 vcc, exec, s[8:9]
	s_cbranch_vccnz .LBB9_157
; %bb.156:
	v_trunc_f64_e32 v[0:1], v[0:1]
	s_movk_i32 s8, 0xffe0
	v_ldexp_f64 v[2:3], v[0:1], s8
	s_mov_b32 s8, 0
	s_mov_b32 s9, 0xc1f00000
	v_floor_f64_e32 v[2:3], v[2:3]
	v_fma_f64 v[0:1], v[2:3], s[8:9], v[0:1]
	v_cvt_u32_f64_e32 v0, v[0:1]
	global_store_byte v[4:5], v0, off
.LBB9_157:
.LBB9_158:
	v_add_u32_e32 v11, 0x80, v11
	s_mov_b64 s[8:9], -1
	s_branch .LBB9_269
.LBB9_159:
	s_mov_b64 s[2:3], -1
                                        ; implicit-def: $vgpr3_vgpr4
.LBB9_160:
	s_mov_b64 s[8:9], 0
.LBB9_161:
	s_and_b64 vcc, exec, s[8:9]
	s_cbranch_vccz .LBB9_165
; %bb.162:
	s_cmp_eq_u32 s12, 29
	s_cbranch_scc0 .LBB9_164
; %bb.163:
	global_load_dwordx2 v[3:4], v[0:1], off
	s_mov_b64 s[0:1], -1
	s_mov_b64 s[2:3], 0
	s_mov_b64 s[8:9], 0
	s_waitcnt vmcnt(0)
	v_cvt_f64_u32_e32 v[4:5], v4
	v_cvt_f64_u32_e32 v[6:7], v3
	v_ldexp_f64 v[4:5], v[4:5], 32
	v_add_f64 v[3:4], v[4:5], v[6:7]
	s_branch .LBB9_166
.LBB9_164:
	s_mov_b64 s[2:3], -1
                                        ; implicit-def: $vgpr3_vgpr4
.LBB9_165:
	s_mov_b64 s[8:9], 0
.LBB9_166:
	s_and_b64 vcc, exec, s[8:9]
	s_cbranch_vccz .LBB9_186
; %bb.167:
	s_cmp_lt_i32 s12, 27
	s_cbranch_scc1 .LBB9_170
; %bb.168:
	s_cmp_gt_i32 s12, 27
	s_cbranch_scc0 .LBB9_171
; %bb.169:
	global_load_dword v3, v[0:1], off
	s_mov_b64 s[0:1], 0
	s_waitcnt vmcnt(0)
	v_cvt_f64_u32_e32 v[3:4], v3
	s_branch .LBB9_172
.LBB9_170:
	s_mov_b64 s[0:1], -1
                                        ; implicit-def: $vgpr3_vgpr4
	s_branch .LBB9_175
.LBB9_171:
	s_mov_b64 s[0:1], -1
                                        ; implicit-def: $vgpr3_vgpr4
.LBB9_172:
	s_andn2_b64 vcc, exec, s[0:1]
	s_cbranch_vccnz .LBB9_174
; %bb.173:
	global_load_ushort v3, v[0:1], off
	s_waitcnt vmcnt(0)
	v_cvt_f64_u32_e32 v[3:4], v3
.LBB9_174:
	s_mov_b64 s[0:1], 0
.LBB9_175:
	s_andn2_b64 vcc, exec, s[0:1]
	s_cbranch_vccnz .LBB9_185
; %bb.176:
	global_load_ubyte v5, v[0:1], off
	s_movk_i32 s0, 0x7f
	s_waitcnt vmcnt(0)
	v_cmp_lt_i16_e32 vcc, s0, v5
	s_mov_b64 s[0:1], 0
	s_and_saveexec_b64 s[8:9], vcc
	s_xor_b64 s[8:9], exec, s[8:9]
	s_cbranch_execz .LBB9_180
; %bb.177:
	s_movk_i32 s0, 0x80
	v_cmp_eq_u16_e32 vcc, s0, v5
	s_mov_b64 s[0:1], -1
	s_and_saveexec_b64 s[10:11], vcc
; %bb.178:
	s_xor_b64 s[0:1], exec, -1
; %bb.179:
	s_or_b64 exec, exec, s[10:11]
	s_and_b64 s[0:1], s[0:1], exec
.LBB9_180:
	s_or_saveexec_b64 s[8:9], s[8:9]
	v_bfrev_b32_e32 v3, 4
	v_mov_b32_e32 v4, 0x7ff80000
	s_xor_b64 exec, exec, s[8:9]
; %bb.181:
	v_cmp_ne_u16_e32 vcc, 0, v5
	v_mov_b32_e32 v3, 0
	s_andn2_b64 s[0:1], s[0:1], exec
	s_and_b64 s[10:11], vcc, exec
	v_mov_b32_e32 v4, 0
	s_or_b64 s[0:1], s[0:1], s[10:11]
; %bb.182:
	s_or_b64 exec, exec, s[8:9]
	s_and_saveexec_b64 s[8:9], s[0:1]
	s_cbranch_execz .LBB9_184
; %bb.183:
	v_and_b32_e32 v4, 0xffff, v5
	v_lshlrev_b32_e32 v3, 24, v5
	v_and_b32_e32 v5, 7, v4
	v_ffbh_u32_e32 v7, v5
	v_min_u32_e32 v7, 32, v7
	v_subrev_u32_e32 v8, 28, v7
	v_bfe_u32 v6, v4, 3, 4
	v_lshlrev_b32_e32 v4, v8, v4
	v_sub_u32_e32 v7, 29, v7
	v_and_b32_e32 v4, 7, v4
	v_cmp_eq_u32_e32 vcc, 0, v6
	v_cndmask_b32_e32 v6, v6, v7, vcc
	v_cndmask_b32_e32 v4, v5, v4, vcc
	v_mov_b32_e32 v5, 0x3b800000
	v_lshlrev_b32_e32 v4, 20, v4
	v_and_b32_e32 v3, 0x80000000, v3
	v_lshl_add_u32 v5, v6, 23, v5
	v_or3_b32 v3, v3, v5, v4
	v_cvt_f64_f32_e32 v[3:4], v3
.LBB9_184:
	s_or_b64 exec, exec, s[8:9]
.LBB9_185:
	s_mov_b64 s[0:1], -1
.LBB9_186:
	s_branch .LBB9_219
.LBB9_187:
	s_cmp_gt_i32 s12, 22
	s_cbranch_scc0 .LBB9_199
; %bb.188:
	s_cmp_lt_i32 s12, 24
	s_cbranch_scc1 .LBB9_200
; %bb.189:
	s_cmp_gt_i32 s12, 24
	s_cbranch_scc0 .LBB9_201
; %bb.190:
	global_load_ubyte v5, v[0:1], off
	s_movk_i32 s0, 0x7f
	s_waitcnt vmcnt(0)
	v_cmp_lt_i16_e32 vcc, s0, v5
	s_mov_b64 s[0:1], 0
	s_and_saveexec_b64 s[8:9], vcc
	s_xor_b64 s[8:9], exec, s[8:9]
	s_cbranch_execz .LBB9_194
; %bb.191:
	s_movk_i32 s0, 0x80
	v_cmp_eq_u16_e32 vcc, s0, v5
	s_mov_b64 s[0:1], -1
	s_and_saveexec_b64 s[10:11], vcc
; %bb.192:
	s_xor_b64 s[0:1], exec, -1
; %bb.193:
	s_or_b64 exec, exec, s[10:11]
	s_and_b64 s[0:1], s[0:1], exec
.LBB9_194:
	s_or_saveexec_b64 s[8:9], s[8:9]
	v_bfrev_b32_e32 v3, 4
	v_mov_b32_e32 v4, 0x7ff80000
	s_xor_b64 exec, exec, s[8:9]
; %bb.195:
	v_cmp_ne_u16_e32 vcc, 0, v5
	v_mov_b32_e32 v3, 0
	s_andn2_b64 s[0:1], s[0:1], exec
	s_and_b64 s[10:11], vcc, exec
	v_mov_b32_e32 v4, 0
	s_or_b64 s[0:1], s[0:1], s[10:11]
; %bb.196:
	s_or_b64 exec, exec, s[8:9]
	s_and_saveexec_b64 s[8:9], s[0:1]
	s_cbranch_execz .LBB9_198
; %bb.197:
	v_and_b32_e32 v4, 0xffff, v5
	v_lshlrev_b32_e32 v3, 24, v5
	v_and_b32_e32 v5, 3, v4
	v_ffbh_u32_e32 v7, v5
	v_min_u32_e32 v7, 32, v7
	v_subrev_u32_e32 v8, 29, v7
	v_bfe_u32 v6, v4, 2, 5
	v_lshlrev_b32_e32 v4, v8, v4
	v_sub_u32_e32 v7, 30, v7
	v_and_b32_e32 v4, 3, v4
	v_cmp_eq_u32_e32 vcc, 0, v6
	v_cndmask_b32_e32 v6, v6, v7, vcc
	v_cndmask_b32_e32 v4, v5, v4, vcc
	v_mov_b32_e32 v5, 0x37800000
	v_lshlrev_b32_e32 v4, 21, v4
	v_and_b32_e32 v3, 0x80000000, v3
	v_lshl_add_u32 v5, v6, 23, v5
	v_or3_b32 v3, v3, v5, v4
	v_cvt_f64_f32_e32 v[3:4], v3
.LBB9_198:
	s_or_b64 exec, exec, s[8:9]
	s_mov_b64 s[0:1], 0
	s_branch .LBB9_202
.LBB9_199:
	s_mov_b64 s[8:9], -1
                                        ; implicit-def: $vgpr3_vgpr4
	s_branch .LBB9_208
.LBB9_200:
	s_mov_b64 s[0:1], -1
                                        ; implicit-def: $vgpr3_vgpr4
	s_branch .LBB9_205
.LBB9_201:
	s_mov_b64 s[0:1], -1
                                        ; implicit-def: $vgpr3_vgpr4
.LBB9_202:
	s_and_b64 vcc, exec, s[0:1]
	s_cbranch_vccz .LBB9_204
; %bb.203:
	global_load_ubyte v3, v[0:1], off
	s_mov_b32 s0, 0x7f800000
	s_waitcnt vmcnt(0)
	v_lshlrev_b32_e32 v3, 24, v3
	v_and_b32_e32 v4, 0x7f000000, v3
	v_ffbh_u32_e32 v5, v4
	v_min_u32_e32 v5, 32, v5
	v_sub_u32_e64 v5, v5, 4 clamp
	v_lshlrev_b32_e32 v7, v5, v4
	v_lshlrev_b32_e32 v5, 23, v5
	v_lshrrev_b32_e32 v7, 4, v7
	v_add_u32_e32 v6, 0x1000000, v4
	v_sub_u32_e32 v5, v7, v5
	v_ashrrev_i32_e32 v6, 8, v6
	v_add_u32_e32 v5, 0x3c000000, v5
	v_and_or_b32 v5, v6, s0, v5
	v_cmp_ne_u32_e32 vcc, 0, v4
	v_cndmask_b32_e32 v4, 0, v5, vcc
	s_brev_b32 s0, 1
	v_and_or_b32 v3, v3, s0, v4
	v_cvt_f64_f32_e32 v[3:4], v3
.LBB9_204:
	s_mov_b64 s[0:1], 0
.LBB9_205:
	s_andn2_b64 vcc, exec, s[0:1]
	s_cbranch_vccnz .LBB9_207
; %bb.206:
	global_load_ubyte v3, v[0:1], off
	s_movk_i32 s0, 0x7f00
	s_brev_b32 s1, 16
	s_waitcnt vmcnt(0)
	v_lshlrev_b16_e32 v4, 8, v3
	v_lshlrev_b32_e32 v3, 25, v3
	v_lshrrev_b32_e32 v5, 4, v3
	v_and_or_b32 v6, v4, s0, 0.5
	v_or_b32_e32 v5, 0x70000000, v5
	v_add_f32_e32 v6, -0.5, v6
	v_mul_f32_e32 v5, 0x7800000, v5
	v_cmp_gt_u32_e32 vcc, s1, v3
	v_bfe_i32 v4, v4, 0, 16
	v_cndmask_b32_e32 v3, v5, v6, vcc
	s_brev_b32 s0, 1
	v_and_or_b32 v3, v4, s0, v3
	v_cvt_f64_f32_e32 v[3:4], v3
.LBB9_207:
	s_mov_b64 s[8:9], 0
	s_mov_b64 s[0:1], -1
.LBB9_208:
	s_andn2_b64 vcc, exec, s[8:9]
	s_cbranch_vccnz .LBB9_219
; %bb.209:
	s_cmp_gt_i32 s12, 14
	s_cbranch_scc0 .LBB9_212
; %bb.210:
	s_cmp_eq_u32 s12, 15
	s_cbranch_scc0 .LBB9_213
; %bb.211:
	global_load_ushort v3, v[0:1], off
	s_mov_b64 s[0:1], -1
	s_mov_b64 s[2:3], 0
	s_waitcnt vmcnt(0)
	v_lshlrev_b32_e32 v3, 16, v3
	v_cvt_f64_f32_e32 v[3:4], v3
	s_branch .LBB9_214
.LBB9_212:
	s_mov_b64 s[8:9], -1
                                        ; implicit-def: $vgpr3_vgpr4
	s_branch .LBB9_215
.LBB9_213:
	s_mov_b64 s[2:3], -1
                                        ; implicit-def: $vgpr3_vgpr4
.LBB9_214:
	s_mov_b64 s[8:9], 0
.LBB9_215:
	s_and_b64 vcc, exec, s[8:9]
	s_cbranch_vccz .LBB9_219
; %bb.216:
	s_cmp_eq_u32 s12, 11
	s_cbranch_scc0 .LBB9_218
; %bb.217:
	global_load_ubyte v4, v[0:1], off
	v_mov_b32_e32 v5, 0x3ff00000
	v_mov_b32_e32 v3, 0
	s_mov_b64 s[0:1], -1
	s_mov_b64 s[2:3], 0
	s_waitcnt vmcnt(0)
	v_cmp_ne_u16_e32 vcc, 0, v4
	v_cndmask_b32_e32 v4, 0, v5, vcc
	s_branch .LBB9_219
.LBB9_218:
	s_mov_b64 s[2:3], -1
                                        ; implicit-def: $vgpr3_vgpr4
.LBB9_219:
	s_branch .LBB9_24
.LBB9_220:
	s_cmp_lt_i32 s12, 5
	s_cbranch_scc1 .LBB9_225
; %bb.221:
	s_cmp_lt_i32 s12, 8
	s_cbranch_scc1 .LBB9_226
; %bb.222:
	;; [unrolled: 3-line block ×3, first 2 shown]
	s_cmp_gt_i32 s12, 9
	s_cbranch_scc0 .LBB9_228
; %bb.224:
	global_load_dwordx2 v[3:4], v[0:1], off
	s_mov_b64 s[0:1], 0
	s_branch .LBB9_229
.LBB9_225:
                                        ; implicit-def: $vgpr3_vgpr4
	s_branch .LBB9_247
.LBB9_226:
	s_mov_b64 s[0:1], -1
                                        ; implicit-def: $vgpr3_vgpr4
	s_branch .LBB9_235
.LBB9_227:
	s_mov_b64 s[0:1], -1
                                        ; implicit-def: $vgpr3_vgpr4
	s_branch .LBB9_232
.LBB9_228:
	s_mov_b64 s[0:1], -1
                                        ; implicit-def: $vgpr3_vgpr4
.LBB9_229:
	s_andn2_b64 vcc, exec, s[0:1]
	s_cbranch_vccnz .LBB9_231
; %bb.230:
	global_load_dword v3, v[0:1], off
	s_waitcnt vmcnt(0)
	v_cvt_f64_f32_e32 v[3:4], v3
.LBB9_231:
	s_mov_b64 s[0:1], 0
.LBB9_232:
	s_andn2_b64 vcc, exec, s[0:1]
	s_cbranch_vccnz .LBB9_234
; %bb.233:
	global_load_dword v3, v[0:1], off
	s_waitcnt vmcnt(0)
	v_cvt_f32_f16_e32 v3, v3
	v_cvt_f64_f32_e32 v[3:4], v3
.LBB9_234:
	s_mov_b64 s[0:1], 0
.LBB9_235:
	s_andn2_b64 vcc, exec, s[0:1]
	s_cbranch_vccnz .LBB9_246
; %bb.236:
	s_cmp_lt_i32 s12, 6
	s_cbranch_scc1 .LBB9_239
; %bb.237:
	s_cmp_gt_i32 s12, 6
	s_cbranch_scc0 .LBB9_240
; %bb.238:
	global_load_dwordx2 v[3:4], v[0:1], off
	s_mov_b64 s[0:1], 0
	s_branch .LBB9_241
.LBB9_239:
	s_mov_b64 s[0:1], -1
                                        ; implicit-def: $vgpr3_vgpr4
	s_branch .LBB9_244
.LBB9_240:
	s_mov_b64 s[0:1], -1
                                        ; implicit-def: $vgpr3_vgpr4
.LBB9_241:
	s_andn2_b64 vcc, exec, s[0:1]
	s_cbranch_vccnz .LBB9_243
; %bb.242:
	global_load_dword v3, v[0:1], off
	s_waitcnt vmcnt(0)
	v_cvt_f64_f32_e32 v[3:4], v3
.LBB9_243:
	s_mov_b64 s[0:1], 0
.LBB9_244:
	s_andn2_b64 vcc, exec, s[0:1]
	s_cbranch_vccnz .LBB9_246
; %bb.245:
	global_load_ushort v3, v[0:1], off
	s_waitcnt vmcnt(0)
	v_cvt_f32_f16_e32 v3, v3
	v_cvt_f64_f32_e32 v[3:4], v3
.LBB9_246:
	s_cbranch_execnz .LBB9_266
.LBB9_247:
	s_cmp_lt_i32 s12, 2
	s_cbranch_scc1 .LBB9_251
; %bb.248:
	s_cmp_lt_i32 s12, 3
	s_cbranch_scc1 .LBB9_252
; %bb.249:
	s_cmp_gt_i32 s12, 3
	s_cbranch_scc0 .LBB9_253
; %bb.250:
	global_load_dwordx2 v[3:4], v[0:1], off
	s_mov_b64 s[0:1], 0
	s_waitcnt vmcnt(0)
	v_cvt_f64_i32_e32 v[4:5], v4
	v_cvt_f64_u32_e32 v[6:7], v3
	v_ldexp_f64 v[4:5], v[4:5], 32
	v_add_f64 v[3:4], v[4:5], v[6:7]
	s_branch .LBB9_254
.LBB9_251:
	s_mov_b64 s[0:1], -1
                                        ; implicit-def: $vgpr3_vgpr4
	s_branch .LBB9_260
.LBB9_252:
	s_mov_b64 s[0:1], -1
                                        ; implicit-def: $vgpr3_vgpr4
	s_branch .LBB9_257
.LBB9_253:
	s_mov_b64 s[0:1], -1
                                        ; implicit-def: $vgpr3_vgpr4
.LBB9_254:
	s_andn2_b64 vcc, exec, s[0:1]
	s_cbranch_vccnz .LBB9_256
; %bb.255:
	global_load_dword v3, v[0:1], off
	s_waitcnt vmcnt(0)
	v_cvt_f64_i32_e32 v[3:4], v3
.LBB9_256:
	s_mov_b64 s[0:1], 0
.LBB9_257:
	s_andn2_b64 vcc, exec, s[0:1]
	s_cbranch_vccnz .LBB9_259
; %bb.258:
	global_load_sshort v3, v[0:1], off
	s_waitcnt vmcnt(0)
	v_cvt_f64_i32_e32 v[3:4], v3
.LBB9_259:
	s_mov_b64 s[0:1], 0
.LBB9_260:
	s_andn2_b64 vcc, exec, s[0:1]
	s_cbranch_vccnz .LBB9_266
; %bb.261:
	s_cmp_gt_i32 s12, 0
	s_cbranch_scc0 .LBB9_263
; %bb.262:
	global_load_sbyte v3, v[0:1], off
	s_mov_b64 s[0:1], 0
	s_waitcnt vmcnt(0)
	v_cvt_f64_i32_e32 v[3:4], v3
	s_branch .LBB9_264
.LBB9_263:
	s_mov_b64 s[0:1], -1
                                        ; implicit-def: $vgpr3_vgpr4
.LBB9_264:
	s_andn2_b64 vcc, exec, s[0:1]
	s_cbranch_vccnz .LBB9_266
; %bb.265:
	global_load_ubyte v0, v[0:1], off
	s_waitcnt vmcnt(0)
	v_cvt_f64_u32_e32 v[3:4], v0
.LBB9_266:
	s_branch .LBB9_25
.LBB9_267:
	s_mov_b64 s[0:1], 0
.LBB9_268:
	s_mov_b64 s[8:9], 0
                                        ; implicit-def: $vgpr11
.LBB9_269:
	s_and_b64 s[52:53], s[0:1], exec
	s_and_b64 s[54:55], s[2:3], exec
	s_orn2_b64 s[2:3], s[8:9], exec
.LBB9_270:
	s_or_b64 exec, exec, s[56:57]
	s_mov_b64 s[10:11], 0
	s_mov_b64 s[0:1], 0
                                        ; implicit-def: $vgpr0_vgpr1
                                        ; implicit-def: $vgpr2
                                        ; implicit-def: $vgpr3_vgpr4
	s_and_saveexec_b64 s[56:57], s[2:3]
	s_cbranch_execz .LBB9_277
; %bb.271:
	v_cmp_gt_i32_e32 vcc, s70, v11
	s_mov_b64 s[0:1], -1
	s_mov_b64 s[58:59], s[54:55]
	s_mov_b64 s[60:61], s[52:53]
	s_and_saveexec_b64 s[62:63], vcc
	s_cbranch_execz .LBB9_550
; %bb.272:
	s_andn2_b64 vcc, exec, s[40:41]
	s_cbranch_vccnz .LBB9_280
; %bb.273:
	s_andn2_b64 vcc, exec, s[50:51]
	s_cbranch_vccnz .LBB9_281
; %bb.274:
	s_add_i32 s65, s75, 1
	s_cmp_eq_u32 s72, 2
	s_cbranch_scc1 .LBB9_282
; %bb.275:
	s_and_b32 s64, s65, 28
	v_mov_b32_e32 v0, 0
	s_mov_b32 s66, 0
	s_mov_b64 s[58:59], s[34:35]
	s_mov_b64 s[60:61], s[48:49]
	v_mov_b32_e32 v2, 0
	v_mov_b32_e32 v1, v11
.LBB9_276:                              ; =>This Inner Loop Header: Depth=1
	s_load_dwordx8 s[16:23], s[58:59], 0x4
	s_load_dwordx4 s[0:3], s[58:59], 0x24
	s_load_dwordx8 s[8:15], s[60:61], 0x0
	s_add_u32 s58, s58, 48
	s_addc_u32 s59, s59, 0
	s_waitcnt vmcnt(0) lgkmcnt(0)
	v_mul_hi_u32 v3, s17, v1
	s_add_i32 s66, s66, 4
	s_add_u32 s60, s60, 32
	s_addc_u32 s61, s61, 0
	v_add_u32_e32 v3, v1, v3
	v_lshrrev_b32_e32 v3, s18, v3
	v_mul_lo_u32 v4, v3, s16
	v_mul_hi_u32 v5, s20, v3
	s_cmp_eq_u32 s64, s66
	v_sub_u32_e32 v1, v1, v4
	v_add_u32_e32 v4, v3, v5
	v_mul_lo_u32 v5, v1, s8
	v_mul_lo_u32 v6, v1, s9
	v_lshrrev_b32_e32 v1, s21, v4
	v_mul_lo_u32 v4, v1, s19
	v_mul_hi_u32 v7, s23, v1
	v_sub_u32_e32 v3, v3, v4
	v_add_u32_e32 v4, v1, v7
	v_lshrrev_b32_e32 v4, s0, v4
	v_mul_hi_u32 v8, s2, v4
	v_mul_lo_u32 v9, v4, s22
	v_mul_lo_u32 v7, v3, s10
	v_mul_lo_u32 v3, v3, s11
	v_sub_u32_e32 v9, v1, v9
	v_add_u32_e32 v1, v4, v8
	v_lshrrev_b32_e32 v1, s3, v1
	v_mul_lo_u32 v8, v1, s1
	v_mul_lo_u32 v10, v9, s12
	;; [unrolled: 1-line block ×3, first 2 shown]
	v_add3_u32 v2, v5, v2, v7
	v_sub_u32_e32 v4, v4, v8
	v_mul_lo_u32 v8, v4, s14
	v_mul_lo_u32 v4, v4, s15
	v_add3_u32 v0, v6, v0, v3
	v_add3_u32 v2, v10, v2, v8
	;; [unrolled: 1-line block ×3, first 2 shown]
	s_cbranch_scc0 .LBB9_276
	s_branch .LBB9_283
.LBB9_277:
	s_or_b64 exec, exec, s[56:57]
	s_mov_b64 s[2:3], 0
	s_and_saveexec_b64 s[8:9], s[54:55]
	s_cbranch_execnz .LBB9_930
.LBB9_278:
	s_or_b64 exec, exec, s[8:9]
	s_and_saveexec_b64 s[8:9], s[60:61]
	s_xor_b64 s[8:9], exec, s[8:9]
	s_cbranch_execz .LBB9_931
.LBB9_279:
	global_load_ubyte v4, v[0:1], off
	v_mov_b32_e32 v5, 0x3ff00000
	s_waitcnt vmcnt(1)
	v_mov_b32_e32 v3, 0
	s_or_b64 s[0:1], s[0:1], exec
	s_waitcnt vmcnt(0)
	v_cmp_ne_u16_e32 vcc, 0, v4
	v_cndmask_b32_e32 v4, 0, v5, vcc
	s_or_b64 exec, exec, s[8:9]
	s_and_saveexec_b64 s[8:9], s[10:11]
	s_cbranch_execz .LBB9_977
	s_branch .LBB9_932
.LBB9_280:
                                        ; implicit-def: $vgpr2
                                        ; implicit-def: $vgpr0
	s_andn2_b64 vcc, exec, s[0:1]
	s_cbranch_vccz .LBB9_287
	s_branch .LBB9_289
.LBB9_281:
	v_mov_b32_e32 v2, 0
	v_mov_b32_e32 v0, 0
	s_branch .LBB9_286
.LBB9_282:
	s_mov_b32 s64, 0
	v_mov_b32_e32 v2, 0
	v_mov_b32_e32 v0, 0
	;; [unrolled: 1-line block ×3, first 2 shown]
.LBB9_283:
	s_and_b32 s8, s65, 3
	s_cmp_eq_u32 s8, 0
	s_cbranch_scc1 .LBB9_286
; %bb.284:
	s_lshl_b32 s0, s64, 3
	s_add_u32 s0, s34, s0
	s_addc_u32 s1, s35, 0
	s_add_u32 s0, s0, 0xc4
	s_addc_u32 s1, s1, 0
	s_mul_i32 s2, s64, 12
	s_add_u32 s2, s34, s2
	s_addc_u32 s3, s35, 0
.LBB9_285:                              ; =>This Inner Loop Header: Depth=1
	s_load_dwordx2 s[10:11], s[2:3], 0x4
	s_load_dword s9, s[2:3], 0xc
	s_load_dwordx2 s[12:13], s[0:1], 0x0
	s_add_u32 s2, s2, 12
	s_addc_u32 s3, s3, 0
	s_waitcnt vmcnt(0) lgkmcnt(0)
	v_mul_hi_u32 v3, s11, v1
	s_add_u32 s0, s0, 8
	s_addc_u32 s1, s1, 0
	s_add_i32 s8, s8, -1
	v_add_u32_e32 v3, v1, v3
	v_lshrrev_b32_e32 v4, s9, v3
	v_mul_lo_u32 v3, v4, s10
	s_cmp_lg_u32 s8, 0
	v_sub_u32_e32 v1, v1, v3
	v_mad_u64_u32 v[2:3], s[10:11], v1, s12, v[2:3]
	v_mad_u64_u32 v[0:1], s[10:11], v1, s13, v[0:1]
	v_mov_b32_e32 v1, v4
	s_cbranch_scc1 .LBB9_285
.LBB9_286:
	s_cbranch_execnz .LBB9_289
.LBB9_287:
	s_waitcnt lgkmcnt(0)
	v_mul_hi_u32 v0, s37, v11
	s_andn2_b64 vcc, exec, s[46:47]
	v_add_u32_e32 v0, v11, v0
	v_lshrrev_b32_e32 v1, s38, v0
	v_mul_lo_u32 v0, v1, s36
	v_sub_u32_e32 v0, v11, v0
	v_mul_lo_u32 v2, v0, s28
	v_mul_lo_u32 v0, v0, s29
	s_cbranch_vccnz .LBB9_289
; %bb.288:
	s_waitcnt vmcnt(0)
	v_mul_hi_u32 v3, s44, v1
	v_add_u32_e32 v3, v1, v3
	v_lshrrev_b32_e32 v3, s45, v3
	v_mul_lo_u32 v3, v3, s39
	v_sub_u32_e32 v1, v1, v3
	v_mad_u64_u32 v[2:3], s[0:1], v1, s30, v[2:3]
	v_mad_u64_u32 v[0:1], s[0:1], v1, s31, v[0:1]
.LBB9_289:
	s_waitcnt lgkmcnt(0)
	v_mov_b32_e32 v1, s27
	s_and_b32 s12, 0xffff, s74
	v_add_co_u32_e32 v0, vcc, s26, v0
	s_cmp_lt_i32 s12, 11
	v_addc_co_u32_e32 v1, vcc, 0, v1, vcc
	s_cbranch_scc1 .LBB9_296
; %bb.290:
	s_cmp_gt_i32 s12, 25
	s_cbranch_scc0 .LBB9_309
; %bb.291:
	s_cmp_gt_i32 s12, 28
	s_cbranch_scc0 .LBB9_311
	;; [unrolled: 3-line block ×4, first 2 shown]
; %bb.294:
	s_cmp_eq_u32 s12, 46
	s_mov_b64 s[8:9], 0
	s_cbranch_scc0 .LBB9_321
; %bb.295:
	global_load_dword v3, v[0:1], off
	s_mov_b64 s[0:1], -1
	s_mov_b64 s[2:3], 0
	s_waitcnt vmcnt(0)
	v_lshlrev_b32_e32 v3, 16, v3
	v_cvt_f64_f32_e32 v[3:4], v3
	s_branch .LBB9_322
.LBB9_296:
	s_mov_b64 s[0:1], 0
                                        ; implicit-def: $vgpr3_vgpr4
	s_mov_b64 s[2:3], s[54:55]
	s_cbranch_execnz .LBB9_499
.LBB9_297:
	s_andn2_b64 vcc, exec, s[0:1]
	s_cbranch_vccnz .LBB9_547
.LBB9_298:
	s_mov_b32 s0, 0
	s_mov_b32 s1, 0x40200000
	s_waitcnt vmcnt(0)
	v_cmp_le_f64_e64 s[0:1], |v[3:4]|, s[0:1]
                                        ; implicit-def: $vgpr0_vgpr1
	s_and_saveexec_b64 s[8:9], s[0:1]
	s_xor_b64 s[0:1], exec, s[8:9]
	s_cbranch_execz .LBB9_300
; %bb.299:
	v_fma_f64 v[0:1], |v[3:4]|, 0.5, -2.0
	v_mov_b32_e32 v5, 0x977da589
	v_mov_b32_e32 v6, 0x3c833362
	s_mov_b32 s9, 0xbc545cb7
	s_mov_b32 s8, 0x2134d0ef
	;; [unrolled: 1-line block ×4, first 2 shown]
	v_mov_b32_e32 v12, 0xfca7ab0c
	v_fma_f64 v[5:6], v[0:1], s[8:9], v[5:6]
	s_mov_b32 s9, 0x3c545cb7
	v_mov_b32_e32 v13, 0x3e928af3
	v_fma_f64 v[7:8], v[0:1], v[5:6], s[8:9]
	s_mov_b32 s8, 0x721ebbb4
	s_mov_b32 s9, 0xbcb184eb
	v_add_f64 v[7:8], v[7:8], s[8:9]
	s_mov_b32 s8, 0x93f65eba
	s_mov_b32 s9, 0x3cdee6d8
	v_fma_f64 v[5:6], v[0:1], v[7:8], -v[5:6]
	v_add_f64 v[5:6], v[5:6], s[8:9]
	s_mov_b32 s8, 0xc297fbeb
	s_mov_b32 s9, 0xbd0a5022
	v_fma_f64 v[7:8], v[0:1], v[5:6], -v[7:8]
	;; [unrolled: 4-line block ×20, first 2 shown]
	v_add_f64 v[7:8], v[7:8], s[8:9]
	s_mov_b32 s8, 0x652b82fe
	s_mov_b32 s9, 0x3ff71547
	v_mul_f64 v[9:10], |v[3:4]|, s[8:9]
	s_mov_b32 s8, 0xf3dde3dd
	s_mov_b32 s9, 0x3f859961
	v_fma_f64 v[5:6], v[0:1], v[7:8], -v[5:6]
	v_rndne_f64_e32 v[9:10], v[9:10]
	v_add_f64 v[5:6], v[5:6], s[8:9]
	s_mov_b32 s8, 0xfefa39ef
	s_mov_b32 s9, 0xbfe62e42
	v_fma_f64 v[3:4], v[9:10], s[8:9], |v[3:4]|
	s_mov_b32 s8, 0xf121b6f0
	s_mov_b32 s9, 0xbf984e9e
	v_fma_f64 v[7:8], v[0:1], v[5:6], -v[7:8]
	v_fma_f64 v[3:4], v[9:10], s[10:11], v[3:4]
	s_mov_b32 s10, 0x623fde64
	s_mov_b32 s11, 0x3ec71dee
	v_add_f64 v[7:8], v[7:8], s[8:9]
	s_mov_b32 s8, 0x6a5dcb37
	s_mov_b32 s9, 0x3e5ade15
	v_fma_f64 v[12:13], v[3:4], s[8:9], v[12:13]
	s_mov_b32 s8, 0xcea8a32d
	s_mov_b32 s9, 0x3fa93e8a
	v_fma_f64 v[5:6], v[0:1], v[7:8], -v[5:6]
	v_fma_f64 v[12:13], v[3:4], v[12:13], s[10:11]
	s_mov_b32 s10, 0x14761f6e
	s_mov_b32 s11, 0x3f2a01a0
	v_add_f64 v[5:6], v[5:6], s[8:9]
	s_mov_b32 s8, 0x7c89e6b0
	s_mov_b32 s9, 0x3efa0199
	v_fma_f64 v[12:13], v[3:4], v[12:13], s[8:9]
	;; [unrolled: 10-line block ×4, first 2 shown]
	s_mov_b32 s8, 0xc057cd8d
	s_mov_b32 s9, 0xbfd37feb
	v_fma_f64 v[7:8], v[0:1], v[5:6], -v[7:8]
	v_fma_f64 v[12:13], v[3:4], v[12:13], s[10:11]
	v_add_f64 v[7:8], v[7:8], s[8:9]
	s_mov_b32 s8, 11
	s_mov_b32 s9, 0x3fe00000
	v_fma_f64 v[12:13], v[3:4], v[12:13], s[8:9]
	s_mov_b32 s8, 0x9035a22a
	s_mov_b32 s9, 0x3fe5a84e
	v_fma_f64 v[0:1], v[0:1], v[7:8], -v[5:6]
	v_fma_f64 v[7:8], v[3:4], v[12:13], 1.0
	v_add_f64 v[0:1], v[0:1], s[8:9]
	v_fma_f64 v[3:4], v[3:4], v[7:8], 1.0
	v_add_f64 v[0:1], v[0:1], -v[5:6]
	v_cvt_i32_f64_e32 v5, v[9:10]
	v_ldexp_f64 v[3:4], v[3:4], v5
	v_mul_f64 v[0:1], v[0:1], 0.5
	v_mul_f64 v[0:1], v[3:4], v[0:1]
                                        ; implicit-def: $vgpr3_vgpr4
.LBB9_300:
	s_andn2_saveexec_b64 s[8:9], s[0:1]
	s_cbranch_execz .LBB9_302
; %bb.301:
	s_mov_b32 s0, 0
	v_and_b32_e32 v1, 0x7fffffff, v4
	v_mov_b32_e32 v0, v3
	s_mov_b32 s1, 0x40400000
	v_div_scale_f64 v[5:6], s[10:11], v[0:1], v[0:1], s[0:1]
	v_div_scale_f64 v[0:1], vcc, s[0:1], v[0:1], s[0:1]
	s_mov_b32 s10, 0x3b39803f
	s_mov_b32 s11, 0xbc7abc9e
	v_mov_b32_e32 v14, 0xfca7ab0c
	v_mov_b32_e32 v15, 0x3e928af3
	s_mov_b32 s12, 0
	s_brev_b32 s13, 8
	v_mov_b32_e32 v16, 0x100
	v_rcp_f64_e32 v[7:8], v[5:6]
	v_fma_f64 v[9:10], -v[5:6], v[7:8], 1.0
	v_fma_f64 v[7:8], v[7:8], v[9:10], v[7:8]
	v_fma_f64 v[9:10], -v[5:6], v[7:8], 1.0
	v_fma_f64 v[7:8], v[7:8], v[9:10], v[7:8]
	v_mul_f64 v[9:10], v[0:1], v[7:8]
	v_fma_f64 v[0:1], -v[5:6], v[9:10], v[0:1]
	v_mov_b32_e32 v5, 0x66119130
	v_mov_b32_e32 v6, 0xbc5646da
	v_div_fmas_f64 v[0:1], v[0:1], v[7:8], v[9:10]
	v_cmp_lt_f64_e64 vcc, |v[3:4]|, s[12:13]
	v_cndmask_b32_e32 v16, 0, v16, vcc
	v_ldexp_f64 v[16:17], |v[3:4]|, v16
	v_div_fixup_f64 v[0:1], v[0:1], |v[3:4]|, s[0:1]
	s_mov_b32 s1, 0xbc60adb7
	s_mov_b32 s0, 0x54ca8b19
	v_rsq_f64_e32 v[18:19], v[16:17]
	v_add_f64 v[0:1], v[0:1], -2.0
	v_fma_f64 v[5:6], v[0:1], s[0:1], v[5:6]
	s_mov_b32 s1, 0x3c60adb7
	v_mul_f64 v[20:21], v[16:17], v[18:19]
	v_mul_f64 v[18:19], v[18:19], 0.5
	v_fma_f64 v[7:8], v[0:1], v[5:6], s[0:1]
	s_mov_b32 s0, 0x12d98421
	s_mov_b32 s1, 0x3c89be18
	v_fma_f64 v[22:23], -v[18:19], v[20:21], 0.5
	v_add_f64 v[7:8], v[7:8], s[0:1]
	s_mov_b32 s0, 0x76041cd
	s_mov_b32 s1, 0x3c83f3dd
	v_fma_f64 v[20:21], v[20:21], v[22:23], v[20:21]
	v_fma_f64 v[18:19], v[18:19], v[22:23], v[18:19]
	v_fma_f64 v[5:6], v[0:1], v[7:8], -v[5:6]
	v_fma_f64 v[22:23], -v[20:21], v[20:21], v[16:17]
	v_add_f64 v[5:6], v[5:6], s[0:1]
	s_mov_b32 s0, 0xabd21fe4
	s_mov_b32 s1, 0xbcb4600b
	v_fma_f64 v[7:8], v[0:1], v[5:6], -v[7:8]
	v_add_f64 v[7:8], v[7:8], s[0:1]
	s_mov_b32 s0, 0xd908de38
	s_mov_b32 s1, 0xbcb8aee7
	v_fma_f64 v[5:6], v[0:1], v[7:8], -v[5:6]
	v_add_f64 v[5:6], v[5:6], s[0:1]
	s_mov_b32 s0, 0xa3eafb1f
	s_mov_b32 s1, 0x3cdfee7d
	v_fma_f64 v[7:8], v[0:1], v[5:6], -v[7:8]
	v_add_f64 v[7:8], v[7:8], s[0:1]
	s_mov_b32 s0, 0x9094e6d7
	s_mov_b32 s1, 0x3cf12a91
	v_fma_f64 v[5:6], v[0:1], v[7:8], -v[5:6]
	v_add_f64 v[5:6], v[5:6], s[0:1]
	s_mov_b32 s0, 0x7e65629a
	s_mov_b32 s1, 0xbd0583fe
	v_fma_f64 v[7:8], v[0:1], v[5:6], -v[7:8]
	v_add_f64 v[7:8], v[7:8], s[0:1]
	s_mov_b32 s0, 0xcf68bb32
	s_mov_b32 s1, 0xbd275d99
	v_fma_f64 v[5:6], v[0:1], v[7:8], -v[5:6]
	v_add_f64 v[5:6], v[5:6], s[0:1]
	s_mov_b32 s0, 0xd5fc545
	s_mov_b32 s1, 0x3d1156ff
	v_fma_f64 v[7:8], v[0:1], v[5:6], -v[7:8]
	v_add_f64 v[7:8], v[7:8], s[0:1]
	s_mov_b32 s0, 0x6b83c073
	s_mov_b32 s1, 0x3d5b1c8c
	v_fma_f64 v[5:6], v[0:1], v[7:8], -v[5:6]
	v_add_f64 v[5:6], v[5:6], s[0:1]
	s_mov_b32 s0, 0xfa268cec
	s_mov_b32 s1, 0x3d694347
	v_fma_f64 v[7:8], v[0:1], v[5:6], -v[7:8]
	v_add_f64 v[7:8], v[7:8], s[0:1]
	s_mov_b32 s0, 0x3178d66
	s_mov_b32 s1, 0xbd7f9043
	v_fma_f64 v[5:6], v[0:1], v[7:8], -v[5:6]
	v_add_f64 v[5:6], v[5:6], s[0:1]
	s_mov_b32 s0, 0x357e7bf2
	s_mov_b32 s1, 0xbdad0fd7
	v_fma_f64 v[7:8], v[0:1], v[5:6], -v[7:8]
	v_add_f64 v[7:8], v[7:8], s[0:1]
	s_mov_b32 s0, 0x8397425
	s_mov_b32 s1, 0xbdc1511d
	v_fma_f64 v[5:6], v[0:1], v[7:8], -v[5:6]
	v_add_f64 v[5:6], v[5:6], s[0:1]
	s_mov_b32 s0, 0xabe8004f
	s_mov_b32 s1, 0x3daa24fe
	v_fma_f64 v[7:8], v[0:1], v[5:6], -v[7:8]
	v_add_f64 v[7:8], v[7:8], s[0:1]
	s_mov_b32 s0, 0xc0f46f75
	s_mov_b32 s1, 0x3e00f9cc
	v_fma_f64 v[5:6], v[0:1], v[7:8], -v[5:6]
	v_add_f64 v[9:10], v[5:6], s[0:1]
	s_mov_b32 s0, 0x652b82fe
	s_mov_b32 s1, 0x3ff71547
	v_mul_f64 v[5:6], |v[3:4]|, s[0:1]
	s_mov_b32 s0, 0xa9225b87
	s_mov_b32 s1, 0x3e2d2c64
	v_fma_f64 v[7:8], v[0:1], v[9:10], -v[7:8]
	v_rndne_f64_e32 v[5:6], v[5:6]
	v_add_f64 v[12:13], v[7:8], s[0:1]
	s_mov_b32 s0, 0xfefa39ef
	s_mov_b32 s1, 0xbfe62e42
	v_fma_f64 v[7:8], v[5:6], s[0:1], |v[3:4]|
	s_mov_b32 s0, 0x80d6d56d
	s_mov_b32 s1, 0x3e585692
	v_fma_f64 v[9:10], v[0:1], v[12:13], -v[9:10]
	v_fma_f64 v[7:8], v[5:6], s[10:11], v[7:8]
	s_mov_b32 s10, 0x623fde64
	s_mov_b32 s11, 0x3ec71dee
	v_add_f64 v[9:10], v[9:10], s[0:1]
	s_mov_b32 s0, 0x6a5dcb37
	s_mov_b32 s1, 0x3e5ade15
	v_fma_f64 v[14:15], v[7:8], s[0:1], v[14:15]
	s_mov_b32 s0, 0xd9cd616e
	s_mov_b32 s1, 0x3e8b8007
	v_fma_f64 v[12:13], v[0:1], v[9:10], -v[12:13]
	v_fma_f64 v[14:15], v[7:8], v[14:15], s[10:11]
	s_mov_b32 s10, 0x14761f6e
	s_mov_b32 s11, 0x3f2a01a0
	v_add_f64 v[12:13], v[12:13], s[0:1]
	s_mov_b32 s0, 0x7c89e6b0
	s_mov_b32 s1, 0x3efa0199
	v_fma_f64 v[14:15], v[7:8], v[14:15], s[0:1]
	;; [unrolled: 10-line block ×4, first 2 shown]
	s_mov_b32 s0, 0xa2e59049
	s_mov_b32 s1, 0x3f6b998c
	v_fma_f64 v[9:10], v[0:1], v[12:13], -v[9:10]
	v_fma_f64 v[14:15], v[7:8], v[14:15], s[10:11]
	v_add_f64 v[9:10], v[9:10], s[0:1]
	s_mov_b32 s0, 11
	s_mov_b32 s1, 0x3fe00000
	v_fma_f64 v[14:15], v[7:8], v[14:15], s[0:1]
	s_mov_b32 s0, 0xaca809cb
	s_mov_b32 s1, 0x3fe9be62
	v_fma_f64 v[0:1], v[0:1], v[9:10], -v[12:13]
	v_fma_f64 v[9:10], v[22:23], v[18:19], v[20:21]
	v_fma_f64 v[14:15], v[7:8], v[14:15], 1.0
	v_add_f64 v[0:1], v[0:1], s[0:1]
	v_fma_f64 v[20:21], -v[9:10], v[9:10], v[16:17]
	s_mov_b32 s0, 0
	v_fma_f64 v[7:8], v[7:8], v[14:15], 1.0
	s_mov_b32 s1, 0x40900000
	v_cmp_ngt_f64_e64 s[0:1], |v[3:4]|, s[0:1]
	v_mov_b32_e32 v3, 0xffffff80
	v_cndmask_b32_e32 v3, 0, v3, vcc
	v_add_f64 v[0:1], v[0:1], -v[12:13]
	v_cvt_i32_f64_e32 v12, v[5:6]
	v_fma_f64 v[5:6], v[20:21], v[18:19], v[9:10]
	v_mov_b32_e32 v9, 0x7ff00000
	v_mov_b32_e32 v10, 0x260
	v_ldexp_f64 v[7:8], v[7:8], v12
	v_cmp_class_f64_e32 vcc, v[16:17], v10
	v_mul_f64 v[0:1], v[0:1], 0.5
	v_ldexp_f64 v[3:4], v[5:6], v3
	v_cndmask_b32_e64 v6, v9, v8, s[0:1]
	v_cndmask_b32_e64 v5, 0, v7, s[0:1]
	v_mul_f64 v[0:1], v[5:6], v[0:1]
	v_cndmask_b32_e32 v4, v4, v17, vcc
	v_cndmask_b32_e32 v3, v3, v16, vcc
	v_div_scale_f64 v[5:6], s[0:1], v[3:4], v[3:4], v[0:1]
	v_div_scale_f64 v[12:13], vcc, v[0:1], v[3:4], v[0:1]
	v_rcp_f64_e32 v[7:8], v[5:6]
	v_fma_f64 v[9:10], -v[5:6], v[7:8], 1.0
	v_fma_f64 v[7:8], v[7:8], v[9:10], v[7:8]
	v_fma_f64 v[9:10], -v[5:6], v[7:8], 1.0
	v_fma_f64 v[7:8], v[7:8], v[9:10], v[7:8]
	v_mul_f64 v[9:10], v[12:13], v[7:8]
	v_fma_f64 v[5:6], -v[5:6], v[9:10], v[12:13]
	v_div_fmas_f64 v[5:6], v[5:6], v[7:8], v[9:10]
	v_div_fixup_f64 v[0:1], v[5:6], v[3:4], v[0:1]
.LBB9_302:
	s_or_b64 exec, exec, s[8:9]
	v_mov_b32_e32 v3, s25
	s_and_b32 s14, s73, 0xff
	v_add_co_u32_e32 v4, vcc, s24, v2
	s_cmp_lt_i32 s14, 11
	v_addc_co_u32_e32 v5, vcc, 0, v3, vcc
	s_cbranch_scc1 .LBB9_310
; %bb.303:
	s_and_b32 s15, 0xffff, s14
	s_cmp_gt_i32 s15, 25
	s_cbranch_scc0 .LBB9_312
; %bb.304:
	s_cmp_gt_i32 s15, 28
	s_cbranch_scc0 .LBB9_314
; %bb.305:
	;; [unrolled: 3-line block ×4, first 2 shown]
	s_mov_b64 s[10:11], 0
	s_mov_b64 s[0:1], -1
	s_cmp_eq_u32 s15, 46
	s_mov_b64 s[8:9], 0
	s_cbranch_scc0 .LBB9_326
; %bb.308:
	v_cvt_f32_f64_e32 v2, v[0:1]
	s_movk_i32 s0, 0x7fff
	v_mov_b32_e32 v3, 0x7fc0
	s_mov_b64 s[8:9], -1
	v_bfe_u32 v6, v2, 16, 1
	v_cmp_o_f32_e32 vcc, v2, v2
	v_add3_u32 v2, v2, v6, s0
	v_cndmask_b32_sdwa v2, v3, v2, vcc dst_sel:DWORD dst_unused:UNUSED_PAD src0_sel:DWORD src1_sel:WORD_1
	global_store_dword v[4:5], v2, off
	s_mov_b64 s[0:1], 0
	s_branch .LBB9_326
.LBB9_309:
	s_mov_b64 s[8:9], -1
	s_mov_b64 s[0:1], 0
	s_mov_b64 s[2:3], s[54:55]
                                        ; implicit-def: $vgpr3_vgpr4
	s_branch .LBB9_465
.LBB9_310:
	s_mov_b64 s[10:11], -1
	s_mov_b64 s[8:9], 0
	s_mov_b64 s[0:1], s[52:53]
	s_branch .LBB9_395
.LBB9_311:
	s_mov_b64 s[8:9], -1
	s_mov_b64 s[0:1], 0
	s_mov_b64 s[2:3], s[54:55]
                                        ; implicit-def: $vgpr3_vgpr4
	s_branch .LBB9_444
.LBB9_312:
	s_mov_b64 s[10:11], -1
	s_mov_b64 s[8:9], 0
	s_mov_b64 s[0:1], s[52:53]
	s_branch .LBB9_353
.LBB9_313:
	s_mov_b64 s[8:9], -1
	s_mov_b64 s[0:1], 0
	s_mov_b64 s[2:3], s[54:55]
                                        ; implicit-def: $vgpr3_vgpr4
	s_branch .LBB9_439
.LBB9_314:
	s_mov_b64 s[10:11], -1
	s_mov_b64 s[8:9], 0
	s_mov_b64 s[0:1], s[52:53]
	s_branch .LBB9_336
.LBB9_315:
	s_andn2_saveexec_b64 s[12:13], s[12:13]
	s_cbranch_execz .LBB9_72
.LBB9_316:
	s_mov_b32 s16, 0x46000000
	v_add_f32_e64 v3, |v2|, s16
	v_and_b32_e32 v3, 0xff, v3
	v_cmp_ne_u32_e32 vcc, 0, v3
	s_andn2_b64 s[10:11], s[10:11], exec
	s_and_b64 s[16:17], vcc, exec
	s_or_b64 s[10:11], s[10:11], s[16:17]
	s_or_b64 exec, exec, s[12:13]
	v_mov_b32_e32 v6, 0
	s_and_saveexec_b64 s[12:13], s[10:11]
	s_cbranch_execnz .LBB9_73
	s_branch .LBB9_74
.LBB9_317:
	s_mov_b64 s[8:9], -1
	s_mov_b64 s[0:1], 0
	s_mov_b64 s[2:3], s[54:55]
                                        ; implicit-def: $vgpr3_vgpr4
	s_branch .LBB9_322
.LBB9_318:
	s_mov_b64 s[10:11], -1
	s_mov_b64 s[8:9], 0
	s_mov_b64 s[0:1], s[52:53]
	s_branch .LBB9_332
.LBB9_319:
	s_andn2_saveexec_b64 s[12:13], s[12:13]
	s_cbranch_execz .LBB9_85
.LBB9_320:
	s_mov_b32 s16, 0x42800000
	v_add_f32_e64 v3, |v2|, s16
	v_and_b32_e32 v3, 0xff, v3
	v_cmp_ne_u32_e32 vcc, 0, v3
	s_andn2_b64 s[10:11], s[10:11], exec
	s_and_b64 s[16:17], vcc, exec
	s_or_b64 s[10:11], s[10:11], s[16:17]
	s_or_b64 exec, exec, s[12:13]
	v_mov_b32_e32 v6, 0
	s_and_saveexec_b64 s[12:13], s[10:11]
	s_cbranch_execnz .LBB9_86
	s_branch .LBB9_87
.LBB9_321:
	s_mov_b64 s[2:3], -1
                                        ; implicit-def: $vgpr3_vgpr4
	s_mov_b64 s[0:1], 0
.LBB9_322:
	s_and_b64 vcc, exec, s[8:9]
	s_cbranch_vccz .LBB9_438
; %bb.323:
	s_cmp_eq_u32 s12, 44
	s_cbranch_scc0 .LBB9_437
; %bb.324:
	global_load_ubyte v5, v[0:1], off
	s_movk_i32 s2, 0xff
	v_bfrev_b32_e32 v6, 4
	v_mov_b32_e32 v7, 0x7ff80000
	v_bfrev_b32_e32 v8, 28
	s_mov_b64 s[0:1], -1
	s_waitcnt vmcnt(0)
	v_lshlrev_b32_e32 v3, 23, v5
	v_cvt_f64_f32_e32 v[3:4], v3
	v_cmp_ne_u32_e32 vcc, s2, v5
	s_mov_b64 s[2:3], 0
	v_cndmask_b32_e32 v3, v6, v3, vcc
	v_cndmask_b32_e32 v4, v7, v4, vcc
	v_cmp_ne_u32_e32 vcc, 0, v5
	v_cndmask_b32_e32 v4, v8, v4, vcc
	v_cndmask_b32_e32 v3, 0, v3, vcc
	s_branch .LBB9_438
.LBB9_325:
	s_mov_b64 s[10:11], -1
	s_mov_b64 s[8:9], 0
	s_mov_b64 s[0:1], s[52:53]
.LBB9_326:
	s_and_b64 vcc, exec, s[10:11]
	s_cbranch_vccz .LBB9_331
; %bb.327:
	s_cmp_eq_u32 s15, 44
	s_mov_b64 s[0:1], -1
	s_cbranch_scc0 .LBB9_331
; %bb.328:
	v_cvt_f32_f64_e32 v2, v[0:1]
	s_movk_i32 s0, 0xff
	v_mov_b32_e32 v6, 0xff
	v_bfe_u32 v3, v2, 23, 8
	v_cmp_ne_u32_e32 vcc, s0, v3
	s_and_saveexec_b64 s[8:9], vcc
; %bb.329:
	s_mov_b32 s0, 0x3fffff
	v_lshrrev_b32_e32 v6, 23, v2
	v_and_b32_e32 v7, 0x400000, v2
	v_and_or_b32 v2, v2, s0, v3
	v_cmp_ne_u32_e32 vcc, 0, v7
	v_cmp_ne_u32_e64 s[0:1], 0, v2
	s_and_b64 s[0:1], vcc, s[0:1]
	v_cndmask_b32_e64 v2, 0, 1, s[0:1]
	v_add_u32_e32 v6, v6, v2
; %bb.330:
	s_or_b64 exec, exec, s[8:9]
	s_mov_b64 s[8:9], -1
	s_mov_b64 s[0:1], 0
	global_store_byte v[4:5], v6, off
.LBB9_331:
	s_mov_b64 s[10:11], 0
.LBB9_332:
	s_and_b64 vcc, exec, s[10:11]
	s_cbranch_vccz .LBB9_335
; %bb.333:
	s_cmp_eq_u32 s15, 29
	s_mov_b64 s[0:1], -1
	s_cbranch_scc0 .LBB9_335
; %bb.334:
	v_trunc_f64_e32 v[2:3], v[0:1]
	s_movk_i32 s0, 0xffe0
	s_mov_b64 s[8:9], -1
	s_mov_b64 s[10:11], 0
	v_ldexp_f64 v[6:7], v[2:3], s0
	s_mov_b32 s0, 0
	s_mov_b32 s1, 0xc1f00000
	v_floor_f64_e32 v[6:7], v[6:7]
	v_fma_f64 v[2:3], v[6:7], s[0:1], v[2:3]
	v_cvt_u32_f64_e32 v7, v[6:7]
	s_mov_b64 s[0:1], 0
	v_cvt_u32_f64_e32 v6, v[2:3]
	global_store_dwordx2 v[4:5], v[6:7], off
	s_branch .LBB9_336
.LBB9_335:
	s_mov_b64 s[10:11], 0
.LBB9_336:
	s_and_b64 vcc, exec, s[10:11]
	s_cbranch_vccz .LBB9_352
; %bb.337:
	s_cmp_lt_i32 s15, 27
	s_mov_b64 s[8:9], -1
	s_cbranch_scc1 .LBB9_343
; %bb.338:
	v_cvt_u32_f64_e32 v2, v[0:1]
	s_cmp_gt_i32 s15, 27
	s_cbranch_scc0 .LBB9_340
; %bb.339:
	s_mov_b64 s[8:9], 0
	global_store_dword v[4:5], v2, off
.LBB9_340:
	s_andn2_b64 vcc, exec, s[8:9]
	s_cbranch_vccnz .LBB9_342
; %bb.341:
	global_store_short v[4:5], v2, off
.LBB9_342:
	s_mov_b64 s[8:9], 0
.LBB9_343:
	s_andn2_b64 vcc, exec, s[8:9]
	s_cbranch_vccnz .LBB9_351
; %bb.344:
	v_cvt_f32_f64_e32 v2, v[0:1]
	s_mov_b32 s8, 0x43800000
	v_mov_b32_e32 v6, 0x80
	v_and_b32_e32 v3, 0x7fffffff, v2
	v_cmp_gt_u32_e32 vcc, s8, v3
	s_and_saveexec_b64 s[8:9], vcc
	s_cbranch_execz .LBB9_350
; %bb.345:
	s_mov_b32 s10, 0x3bffffff
	v_cmp_lt_u32_e32 vcc, s10, v3
	s_mov_b64 s[10:11], 0
                                        ; implicit-def: $vgpr3
	s_and_saveexec_b64 s[12:13], vcc
	s_xor_b64 s[12:13], exec, s[12:13]
	s_cbranch_execz .LBB9_578
; %bb.346:
	v_bfe_u32 v3, v2, 20, 1
	s_mov_b32 s16, 0x487ffff
	v_add3_u32 v3, v2, v3, s16
	s_mov_b64 s[10:11], exec
	v_lshrrev_b32_e32 v3, 20, v3
	s_andn2_saveexec_b64 s[12:13], s[12:13]
	s_cbranch_execnz .LBB9_579
.LBB9_347:
	s_or_b64 exec, exec, s[12:13]
	v_mov_b32_e32 v6, 0
	s_and_saveexec_b64 s[12:13], s[10:11]
.LBB9_348:
	v_lshrrev_b32_e32 v2, 24, v2
	s_movk_i32 s10, 0x80
	v_and_or_b32 v6, v2, s10, v3
.LBB9_349:
	s_or_b64 exec, exec, s[12:13]
.LBB9_350:
	s_or_b64 exec, exec, s[8:9]
	global_store_byte v[4:5], v6, off
.LBB9_351:
	s_mov_b64 s[8:9], -1
.LBB9_352:
	s_mov_b64 s[10:11], 0
.LBB9_353:
	s_and_b64 vcc, exec, s[10:11]
	s_cbranch_vccz .LBB9_394
; %bb.354:
	s_cmp_gt_i32 s15, 22
	s_mov_b64 s[10:11], -1
	s_cbranch_scc0 .LBB9_386
; %bb.355:
	s_cmp_lt_i32 s15, 24
	s_mov_b64 s[8:9], -1
	s_cbranch_scc1 .LBB9_375
; %bb.356:
	s_cmp_gt_i32 s15, 24
	s_cbranch_scc0 .LBB9_364
; %bb.357:
	v_cvt_f32_f64_e32 v2, v[0:1]
	s_mov_b32 s8, 0x47800000
	v_mov_b32_e32 v6, 0x80
	v_and_b32_e32 v3, 0x7fffffff, v2
	v_cmp_gt_u32_e32 vcc, s8, v3
	s_and_saveexec_b64 s[8:9], vcc
	s_cbranch_execz .LBB9_363
; %bb.358:
	s_mov_b32 s10, 0x37ffffff
	v_cmp_lt_u32_e32 vcc, s10, v3
	s_mov_b64 s[10:11], 0
                                        ; implicit-def: $vgpr3
	s_and_saveexec_b64 s[12:13], vcc
	s_xor_b64 s[12:13], exec, s[12:13]
	s_cbranch_execz .LBB9_581
; %bb.359:
	v_bfe_u32 v3, v2, 21, 1
	s_mov_b32 s16, 0x88fffff
	v_add3_u32 v3, v2, v3, s16
	s_mov_b64 s[10:11], exec
	v_lshrrev_b32_e32 v3, 21, v3
	s_andn2_saveexec_b64 s[12:13], s[12:13]
	s_cbranch_execnz .LBB9_582
.LBB9_360:
	s_or_b64 exec, exec, s[12:13]
	v_mov_b32_e32 v6, 0
	s_and_saveexec_b64 s[12:13], s[10:11]
.LBB9_361:
	v_lshrrev_b32_e32 v2, 24, v2
	s_movk_i32 s10, 0x80
	v_and_or_b32 v6, v2, s10, v3
.LBB9_362:
	s_or_b64 exec, exec, s[12:13]
.LBB9_363:
	s_or_b64 exec, exec, s[8:9]
	s_mov_b64 s[8:9], 0
	global_store_byte v[4:5], v6, off
.LBB9_364:
	s_and_b64 vcc, exec, s[8:9]
	s_cbranch_vccz .LBB9_374
; %bb.365:
	v_cvt_f32_f64_e32 v2, v[0:1]
	s_mov_b32 s8, 0x43f00000
                                        ; implicit-def: $vgpr3
	v_and_b32_e32 v6, 0x7fffffff, v2
	v_cmp_gt_u32_e32 vcc, s8, v6
	s_and_saveexec_b64 s[8:9], vcc
	s_xor_b64 s[8:9], exec, s[8:9]
	s_cbranch_execz .LBB9_371
; %bb.366:
	s_mov_b32 s10, 0x3c7fffff
	v_cmp_lt_u32_e32 vcc, s10, v6
                                        ; implicit-def: $vgpr3
	s_and_saveexec_b64 s[10:11], vcc
	s_xor_b64 s[10:11], exec, s[10:11]
; %bb.367:
	v_bfe_u32 v3, v2, 20, 1
	s_mov_b32 s12, 0x407ffff
	v_add3_u32 v3, v2, v3, s12
	v_lshrrev_b32_e32 v6, 20, v3
	v_and_b32_e32 v3, 0xff00000, v3
	s_mov_b32 s12, 0x7f00000
	v_mov_b32_e32 v7, 0x7e
	v_cmp_ne_u32_e32 vcc, s12, v3
	v_cndmask_b32_e32 v3, v7, v6, vcc
; %bb.368:
	s_andn2_saveexec_b64 s[10:11], s[10:11]
; %bb.369:
	s_mov_b32 s12, 0x46800000
	v_add_f32_e64 v3, |v2|, s12
; %bb.370:
	s_or_b64 exec, exec, s[10:11]
                                        ; implicit-def: $vgpr6
.LBB9_371:
	s_andn2_saveexec_b64 s[8:9], s[8:9]
; %bb.372:
	s_mov_b32 s10, 0x7f800000
	v_mov_b32_e32 v3, 0x7e
	v_mov_b32_e32 v7, 0x7f
	v_cmp_lt_u32_e32 vcc, s10, v6
	v_cndmask_b32_e32 v3, v3, v7, vcc
; %bb.373:
	s_or_b64 exec, exec, s[8:9]
	v_lshrrev_b32_e32 v2, 24, v2
	s_movk_i32 s8, 0x80
	v_and_or_b32 v2, v2, s8, v3
	global_store_byte v[4:5], v2, off
.LBB9_374:
	s_mov_b64 s[8:9], 0
.LBB9_375:
	s_andn2_b64 vcc, exec, s[8:9]
	s_cbranch_vccnz .LBB9_385
; %bb.376:
	v_cvt_f32_f64_e32 v2, v[0:1]
	s_mov_b32 s8, 0x47800000
                                        ; implicit-def: $vgpr3
	v_and_b32_e32 v6, 0x7fffffff, v2
	v_cmp_gt_u32_e32 vcc, s8, v6
	s_and_saveexec_b64 s[8:9], vcc
	s_xor_b64 s[8:9], exec, s[8:9]
	s_cbranch_execz .LBB9_382
; %bb.377:
	s_mov_b32 s10, 0x387fffff
	v_cmp_lt_u32_e32 vcc, s10, v6
                                        ; implicit-def: $vgpr3
	s_and_saveexec_b64 s[10:11], vcc
	s_xor_b64 s[10:11], exec, s[10:11]
; %bb.378:
	v_bfe_u32 v3, v2, 21, 1
	s_mov_b32 s12, 0x80fffff
	v_add3_u32 v3, v2, v3, s12
	v_lshrrev_b32_e32 v3, 21, v3
; %bb.379:
	s_andn2_saveexec_b64 s[10:11], s[10:11]
; %bb.380:
	s_mov_b32 s12, 0x43000000
	v_add_f32_e64 v3, |v2|, s12
; %bb.381:
	s_or_b64 exec, exec, s[10:11]
                                        ; implicit-def: $vgpr6
.LBB9_382:
	s_andn2_saveexec_b64 s[8:9], s[8:9]
; %bb.383:
	s_mov_b32 s10, 0x7f800000
	v_mov_b32_e32 v3, 0x7c
	v_mov_b32_e32 v7, 0x7f
	v_cmp_lt_u32_e32 vcc, s10, v6
	v_cndmask_b32_e32 v3, v3, v7, vcc
; %bb.384:
	s_or_b64 exec, exec, s[8:9]
	v_lshrrev_b32_e32 v2, 24, v2
	s_movk_i32 s8, 0x80
	v_and_or_b32 v2, v2, s8, v3
	global_store_byte v[4:5], v2, off
.LBB9_385:
	s_mov_b64 s[10:11], 0
	s_mov_b64 s[8:9], -1
.LBB9_386:
	s_andn2_b64 vcc, exec, s[10:11]
	s_cbranch_vccnz .LBB9_394
; %bb.387:
	s_cmp_gt_i32 s15, 14
	s_mov_b64 s[10:11], -1
	s_cbranch_scc0 .LBB9_391
; %bb.388:
	s_cmp_eq_u32 s15, 15
	s_mov_b64 s[0:1], -1
	s_cbranch_scc0 .LBB9_390
; %bb.389:
	v_cvt_f32_f64_e32 v2, v[0:1]
	s_movk_i32 s0, 0x7fff
	v_mov_b32_e32 v3, 0x7fc0
	s_mov_b64 s[8:9], -1
	v_bfe_u32 v6, v2, 16, 1
	v_cmp_o_f32_e32 vcc, v2, v2
	v_add3_u32 v2, v2, v6, s0
	v_cndmask_b32_sdwa v2, v3, v2, vcc dst_sel:DWORD dst_unused:UNUSED_PAD src0_sel:DWORD src1_sel:WORD_1
	global_store_short v[4:5], v2, off
	s_mov_b64 s[0:1], 0
.LBB9_390:
	s_mov_b64 s[10:11], 0
.LBB9_391:
	s_and_b64 vcc, exec, s[10:11]
	s_cbranch_vccz .LBB9_394
; %bb.392:
	s_cmp_eq_u32 s15, 11
	s_mov_b64 s[0:1], -1
	s_cbranch_scc0 .LBB9_394
; %bb.393:
	v_cmp_neq_f64_e32 vcc, 0, v[0:1]
	s_mov_b64 s[0:1], 0
	s_mov_b64 s[8:9], -1
	v_cndmask_b32_e64 v2, 0, 1, vcc
	global_store_byte v[4:5], v2, off
.LBB9_394:
	s_mov_b64 s[10:11], 0
.LBB9_395:
	s_and_b64 vcc, exec, s[10:11]
	s_cbranch_vccz .LBB9_434
; %bb.396:
	s_and_b32 s10, 0xffff, s14
	s_cmp_lt_i32 s10, 5
	s_mov_b64 s[8:9], -1
	s_cbranch_scc1 .LBB9_417
; %bb.397:
	s_cmp_lt_i32 s10, 8
	s_cbranch_scc1 .LBB9_407
; %bb.398:
	s_cmp_lt_i32 s10, 9
	s_cbranch_scc1 .LBB9_404
; %bb.399:
	s_cmp_gt_i32 s10, 9
	s_cbranch_scc0 .LBB9_401
; %bb.400:
	v_mov_b32_e32 v2, 0
	v_mov_b32_e32 v3, v2
	s_mov_b64 s[8:9], 0
	global_store_dwordx4 v[4:5], v[0:3], off
.LBB9_401:
	s_andn2_b64 vcc, exec, s[8:9]
	s_cbranch_vccnz .LBB9_403
; %bb.402:
	v_cvt_f32_f64_e32 v2, v[0:1]
	v_mov_b32_e32 v3, 0
	global_store_dwordx2 v[4:5], v[2:3], off
.LBB9_403:
	s_mov_b64 s[8:9], 0
.LBB9_404:
	s_andn2_b64 vcc, exec, s[8:9]
	s_cbranch_vccnz .LBB9_406
; %bb.405:
	s_movk_i32 s8, 0x1ff
	v_and_or_b32 v2, v1, s8, v0
	v_cmp_ne_u32_e32 vcc, 0, v2
	v_cndmask_b32_e64 v2, 0, 1, vcc
	v_lshrrev_b32_e32 v3, 8, v1
	s_movk_i32 s8, 0xffe
	v_bfe_u32 v6, v1, 20, 11
	v_and_or_b32 v2, v3, s8, v2
	v_sub_u32_e32 v7, 0x3f1, v6
	v_or_b32_e32 v3, 0x1000, v2
	v_med3_i32 v7, v7, 0, 13
	v_lshrrev_b32_e32 v8, v7, v3
	v_lshlrev_b32_e32 v7, v7, v8
	v_cmp_ne_u32_e32 vcc, v7, v3
	v_cndmask_b32_e64 v3, 0, 1, vcc
	v_add_u32_e32 v6, 0xfffffc10, v6
	v_or_b32_e32 v3, v8, v3
	v_lshl_or_b32 v7, v6, 12, v2
	v_cmp_gt_i32_e32 vcc, 1, v6
	v_cndmask_b32_e32 v3, v7, v3, vcc
	v_and_b32_e32 v7, 7, v3
	v_cmp_lt_i32_e32 vcc, 5, v7
	v_cndmask_b32_e64 v8, 0, 1, vcc
	v_cmp_eq_u32_e32 vcc, 3, v7
	v_cndmask_b32_e64 v7, 0, 1, vcc
	v_or_b32_e32 v7, v7, v8
	v_lshrrev_b32_e32 v3, 2, v3
	v_add_u32_e32 v3, v3, v7
	v_mov_b32_e32 v7, 0x7c00
	v_cmp_gt_i32_e32 vcc, 31, v6
	v_cndmask_b32_e32 v3, v7, v3, vcc
	v_mov_b32_e32 v8, 0x7e00
	v_cmp_ne_u32_e32 vcc, 0, v2
	s_movk_i32 s8, 0x40f
	v_cndmask_b32_e32 v2, v7, v8, vcc
	v_cmp_eq_u32_e32 vcc, s8, v6
	v_cndmask_b32_e32 v2, v3, v2, vcc
	v_lshrrev_b32_e32 v3, 16, v1
	s_mov_b32 s8, 0x8000
	v_and_or_b32 v2, v3, s8, v2
	v_and_b32_e32 v2, 0xffff, v2
	global_store_dword v[4:5], v2, off
.LBB9_406:
	s_mov_b64 s[8:9], 0
.LBB9_407:
	s_andn2_b64 vcc, exec, s[8:9]
	s_cbranch_vccnz .LBB9_416
; %bb.408:
	s_cmp_lt_i32 s10, 6
	s_mov_b64 s[8:9], -1
	s_cbranch_scc1 .LBB9_414
; %bb.409:
	s_cmp_gt_i32 s10, 6
	s_cbranch_scc0 .LBB9_411
; %bb.410:
	s_mov_b64 s[8:9], 0
	global_store_dwordx2 v[4:5], v[0:1], off
.LBB9_411:
	s_andn2_b64 vcc, exec, s[8:9]
	s_cbranch_vccnz .LBB9_413
; %bb.412:
	v_cvt_f32_f64_e32 v2, v[0:1]
	global_store_dword v[4:5], v2, off
.LBB9_413:
	s_mov_b64 s[8:9], 0
.LBB9_414:
	s_andn2_b64 vcc, exec, s[8:9]
	s_cbranch_vccnz .LBB9_416
; %bb.415:
	s_movk_i32 s8, 0x1ff
	v_and_or_b32 v2, v1, s8, v0
	v_cmp_ne_u32_e32 vcc, 0, v2
	v_cndmask_b32_e64 v2, 0, 1, vcc
	v_lshrrev_b32_e32 v3, 8, v1
	s_movk_i32 s8, 0xffe
	v_bfe_u32 v6, v1, 20, 11
	v_and_or_b32 v2, v3, s8, v2
	v_sub_u32_e32 v7, 0x3f1, v6
	v_or_b32_e32 v3, 0x1000, v2
	v_med3_i32 v7, v7, 0, 13
	v_lshrrev_b32_e32 v8, v7, v3
	v_lshlrev_b32_e32 v7, v7, v8
	v_cmp_ne_u32_e32 vcc, v7, v3
	v_cndmask_b32_e64 v3, 0, 1, vcc
	v_add_u32_e32 v6, 0xfffffc10, v6
	v_or_b32_e32 v3, v8, v3
	v_lshl_or_b32 v7, v6, 12, v2
	v_cmp_gt_i32_e32 vcc, 1, v6
	v_cndmask_b32_e32 v3, v7, v3, vcc
	v_and_b32_e32 v7, 7, v3
	v_cmp_lt_i32_e32 vcc, 5, v7
	v_cndmask_b32_e64 v8, 0, 1, vcc
	v_cmp_eq_u32_e32 vcc, 3, v7
	v_cndmask_b32_e64 v7, 0, 1, vcc
	v_or_b32_e32 v7, v7, v8
	v_lshrrev_b32_e32 v3, 2, v3
	v_add_u32_e32 v3, v3, v7
	v_mov_b32_e32 v7, 0x7c00
	v_cmp_gt_i32_e32 vcc, 31, v6
	v_cndmask_b32_e32 v3, v7, v3, vcc
	v_mov_b32_e32 v8, 0x7e00
	v_cmp_ne_u32_e32 vcc, 0, v2
	s_movk_i32 s8, 0x40f
	v_cndmask_b32_e32 v2, v7, v8, vcc
	v_cmp_eq_u32_e32 vcc, s8, v6
	v_cndmask_b32_e32 v2, v3, v2, vcc
	v_lshrrev_b32_e32 v3, 16, v1
	s_mov_b32 s8, 0x8000
	v_and_or_b32 v2, v3, s8, v2
	global_store_short v[4:5], v2, off
.LBB9_416:
	s_mov_b64 s[8:9], 0
.LBB9_417:
	s_andn2_b64 vcc, exec, s[8:9]
	s_cbranch_vccnz .LBB9_433
; %bb.418:
	s_cmp_lt_i32 s10, 2
	s_mov_b64 s[8:9], -1
	s_cbranch_scc1 .LBB9_428
; %bb.419:
	s_cmp_lt_i32 s10, 3
	s_cbranch_scc1 .LBB9_425
; %bb.420:
	s_cmp_gt_i32 s10, 3
	s_cbranch_scc0 .LBB9_422
; %bb.421:
	v_trunc_f64_e32 v[2:3], v[0:1]
	s_movk_i32 s8, 0xffe0
	v_ldexp_f64 v[6:7], v[2:3], s8
	s_mov_b32 s8, 0
	s_mov_b32 s9, 0xc1f00000
	v_floor_f64_e32 v[6:7], v[6:7]
	v_fma_f64 v[2:3], v[6:7], s[8:9], v[2:3]
	v_cvt_i32_f64_e32 v7, v[6:7]
	s_mov_b64 s[8:9], 0
	v_cvt_u32_f64_e32 v6, v[2:3]
	global_store_dwordx2 v[4:5], v[6:7], off
.LBB9_422:
	s_andn2_b64 vcc, exec, s[8:9]
	s_cbranch_vccnz .LBB9_424
; %bb.423:
	v_cvt_i32_f64_e32 v2, v[0:1]
	global_store_dword v[4:5], v2, off
.LBB9_424:
	s_mov_b64 s[8:9], 0
.LBB9_425:
	s_andn2_b64 vcc, exec, s[8:9]
	s_cbranch_vccnz .LBB9_427
; %bb.426:
	v_cvt_i32_f64_e32 v2, v[0:1]
	global_store_short v[4:5], v2, off
.LBB9_427:
	s_mov_b64 s[8:9], 0
.LBB9_428:
	s_andn2_b64 vcc, exec, s[8:9]
	s_cbranch_vccnz .LBB9_433
; %bb.429:
	s_cmp_gt_i32 s10, 0
	s_mov_b64 s[8:9], -1
	s_cbranch_scc0 .LBB9_431
; %bb.430:
	v_cvt_i32_f64_e32 v2, v[0:1]
	s_mov_b64 s[8:9], 0
	global_store_byte v[4:5], v2, off
.LBB9_431:
	s_andn2_b64 vcc, exec, s[8:9]
	s_cbranch_vccnz .LBB9_433
; %bb.432:
	v_trunc_f64_e32 v[0:1], v[0:1]
	s_movk_i32 s8, 0xffe0
	v_ldexp_f64 v[2:3], v[0:1], s8
	s_mov_b32 s8, 0
	s_mov_b32 s9, 0xc1f00000
	v_floor_f64_e32 v[2:3], v[2:3]
	v_fma_f64 v[0:1], v[2:3], s[8:9], v[0:1]
	v_cvt_u32_f64_e32 v0, v[0:1]
	global_store_byte v[4:5], v0, off
.LBB9_433:
	s_mov_b64 s[8:9], -1
.LBB9_434:
	s_andn2_b64 vcc, exec, s[8:9]
	s_cbranch_vccnz .LBB9_436
; %bb.435:
	v_add_u32_e32 v11, 0x80, v11
	s_mov_b64 s[8:9], -1
	s_branch .LBB9_549
.LBB9_436:
	s_mov_b64 s[8:9], 0
	s_branch .LBB9_548
.LBB9_437:
	s_mov_b64 s[2:3], -1
                                        ; implicit-def: $vgpr3_vgpr4
.LBB9_438:
	s_mov_b64 s[8:9], 0
.LBB9_439:
	s_and_b64 vcc, exec, s[8:9]
	s_cbranch_vccz .LBB9_443
; %bb.440:
	s_cmp_eq_u32 s12, 29
	s_cbranch_scc0 .LBB9_442
; %bb.441:
	global_load_dwordx2 v[3:4], v[0:1], off
	s_mov_b64 s[0:1], -1
	s_mov_b64 s[2:3], 0
	s_mov_b64 s[8:9], 0
	s_waitcnt vmcnt(0)
	v_cvt_f64_u32_e32 v[4:5], v4
	v_cvt_f64_u32_e32 v[6:7], v3
	v_ldexp_f64 v[4:5], v[4:5], 32
	v_add_f64 v[3:4], v[4:5], v[6:7]
	s_branch .LBB9_444
.LBB9_442:
	s_mov_b64 s[2:3], -1
                                        ; implicit-def: $vgpr3_vgpr4
.LBB9_443:
	s_mov_b64 s[8:9], 0
.LBB9_444:
	s_and_b64 vcc, exec, s[8:9]
	s_cbranch_vccz .LBB9_464
; %bb.445:
	s_cmp_lt_i32 s12, 27
	s_cbranch_scc1 .LBB9_448
; %bb.446:
	s_cmp_gt_i32 s12, 27
	s_cbranch_scc0 .LBB9_449
; %bb.447:
	global_load_dword v3, v[0:1], off
	s_mov_b64 s[0:1], 0
	s_waitcnt vmcnt(0)
	v_cvt_f64_u32_e32 v[3:4], v3
	s_branch .LBB9_450
.LBB9_448:
	s_mov_b64 s[0:1], -1
                                        ; implicit-def: $vgpr3_vgpr4
	s_branch .LBB9_453
.LBB9_449:
	s_mov_b64 s[0:1], -1
                                        ; implicit-def: $vgpr3_vgpr4
.LBB9_450:
	s_andn2_b64 vcc, exec, s[0:1]
	s_cbranch_vccnz .LBB9_452
; %bb.451:
	global_load_ushort v3, v[0:1], off
	s_waitcnt vmcnt(0)
	v_cvt_f64_u32_e32 v[3:4], v3
.LBB9_452:
	s_mov_b64 s[0:1], 0
.LBB9_453:
	s_andn2_b64 vcc, exec, s[0:1]
	s_cbranch_vccnz .LBB9_463
; %bb.454:
	global_load_ubyte v5, v[0:1], off
	s_movk_i32 s0, 0x7f
	s_waitcnt vmcnt(0)
	v_cmp_lt_i16_e32 vcc, s0, v5
	s_mov_b64 s[0:1], 0
	s_and_saveexec_b64 s[8:9], vcc
	s_xor_b64 s[8:9], exec, s[8:9]
	s_cbranch_execz .LBB9_458
; %bb.455:
	s_movk_i32 s0, 0x80
	v_cmp_eq_u16_e32 vcc, s0, v5
	s_mov_b64 s[0:1], -1
	s_and_saveexec_b64 s[10:11], vcc
; %bb.456:
	s_xor_b64 s[0:1], exec, -1
; %bb.457:
	s_or_b64 exec, exec, s[10:11]
	s_and_b64 s[0:1], s[0:1], exec
.LBB9_458:
	s_or_saveexec_b64 s[8:9], s[8:9]
	v_bfrev_b32_e32 v3, 4
	v_mov_b32_e32 v4, 0x7ff80000
	s_xor_b64 exec, exec, s[8:9]
; %bb.459:
	v_cmp_ne_u16_e32 vcc, 0, v5
	v_mov_b32_e32 v3, 0
	s_andn2_b64 s[0:1], s[0:1], exec
	s_and_b64 s[10:11], vcc, exec
	v_mov_b32_e32 v4, 0
	s_or_b64 s[0:1], s[0:1], s[10:11]
; %bb.460:
	s_or_b64 exec, exec, s[8:9]
	s_and_saveexec_b64 s[8:9], s[0:1]
	s_cbranch_execz .LBB9_462
; %bb.461:
	v_and_b32_e32 v4, 0xffff, v5
	v_lshlrev_b32_e32 v3, 24, v5
	v_and_b32_e32 v5, 7, v4
	v_ffbh_u32_e32 v7, v5
	v_min_u32_e32 v7, 32, v7
	v_subrev_u32_e32 v8, 28, v7
	v_bfe_u32 v6, v4, 3, 4
	v_lshlrev_b32_e32 v4, v8, v4
	v_sub_u32_e32 v7, 29, v7
	v_and_b32_e32 v4, 7, v4
	v_cmp_eq_u32_e32 vcc, 0, v6
	v_cndmask_b32_e32 v6, v6, v7, vcc
	v_cndmask_b32_e32 v4, v5, v4, vcc
	v_mov_b32_e32 v5, 0x3b800000
	v_lshlrev_b32_e32 v4, 20, v4
	v_and_b32_e32 v3, 0x80000000, v3
	v_lshl_add_u32 v5, v6, 23, v5
	v_or3_b32 v3, v3, v5, v4
	v_cvt_f64_f32_e32 v[3:4], v3
.LBB9_462:
	s_or_b64 exec, exec, s[8:9]
.LBB9_463:
	s_mov_b64 s[0:1], -1
.LBB9_464:
	s_mov_b64 s[8:9], 0
.LBB9_465:
	s_and_b64 vcc, exec, s[8:9]
	s_cbranch_vccz .LBB9_498
; %bb.466:
	s_cmp_gt_i32 s12, 22
	s_cbranch_scc0 .LBB9_478
; %bb.467:
	s_cmp_lt_i32 s12, 24
	s_cbranch_scc1 .LBB9_479
; %bb.468:
	s_cmp_gt_i32 s12, 24
	s_cbranch_scc0 .LBB9_480
; %bb.469:
	global_load_ubyte v5, v[0:1], off
	s_movk_i32 s0, 0x7f
	s_waitcnt vmcnt(0)
	v_cmp_lt_i16_e32 vcc, s0, v5
	s_mov_b64 s[0:1], 0
	s_and_saveexec_b64 s[8:9], vcc
	s_xor_b64 s[8:9], exec, s[8:9]
	s_cbranch_execz .LBB9_473
; %bb.470:
	s_movk_i32 s0, 0x80
	v_cmp_eq_u16_e32 vcc, s0, v5
	s_mov_b64 s[0:1], -1
	s_and_saveexec_b64 s[10:11], vcc
; %bb.471:
	s_xor_b64 s[0:1], exec, -1
; %bb.472:
	s_or_b64 exec, exec, s[10:11]
	s_and_b64 s[0:1], s[0:1], exec
.LBB9_473:
	s_or_saveexec_b64 s[8:9], s[8:9]
	v_bfrev_b32_e32 v3, 4
	v_mov_b32_e32 v4, 0x7ff80000
	s_xor_b64 exec, exec, s[8:9]
; %bb.474:
	v_cmp_ne_u16_e32 vcc, 0, v5
	v_mov_b32_e32 v3, 0
	s_andn2_b64 s[0:1], s[0:1], exec
	s_and_b64 s[10:11], vcc, exec
	v_mov_b32_e32 v4, 0
	s_or_b64 s[0:1], s[0:1], s[10:11]
; %bb.475:
	s_or_b64 exec, exec, s[8:9]
	s_and_saveexec_b64 s[8:9], s[0:1]
	s_cbranch_execz .LBB9_477
; %bb.476:
	v_and_b32_e32 v4, 0xffff, v5
	v_lshlrev_b32_e32 v3, 24, v5
	v_and_b32_e32 v5, 3, v4
	v_ffbh_u32_e32 v7, v5
	v_min_u32_e32 v7, 32, v7
	v_subrev_u32_e32 v8, 29, v7
	v_bfe_u32 v6, v4, 2, 5
	v_lshlrev_b32_e32 v4, v8, v4
	v_sub_u32_e32 v7, 30, v7
	v_and_b32_e32 v4, 3, v4
	v_cmp_eq_u32_e32 vcc, 0, v6
	v_cndmask_b32_e32 v6, v6, v7, vcc
	v_cndmask_b32_e32 v4, v5, v4, vcc
	v_mov_b32_e32 v5, 0x37800000
	v_lshlrev_b32_e32 v4, 21, v4
	v_and_b32_e32 v3, 0x80000000, v3
	v_lshl_add_u32 v5, v6, 23, v5
	v_or3_b32 v3, v3, v5, v4
	v_cvt_f64_f32_e32 v[3:4], v3
.LBB9_477:
	s_or_b64 exec, exec, s[8:9]
	s_mov_b64 s[0:1], 0
	s_branch .LBB9_481
.LBB9_478:
	s_mov_b64 s[8:9], -1
                                        ; implicit-def: $vgpr3_vgpr4
	s_branch .LBB9_487
.LBB9_479:
	s_mov_b64 s[0:1], -1
                                        ; implicit-def: $vgpr3_vgpr4
	s_branch .LBB9_484
.LBB9_480:
	s_mov_b64 s[0:1], -1
                                        ; implicit-def: $vgpr3_vgpr4
.LBB9_481:
	s_and_b64 vcc, exec, s[0:1]
	s_cbranch_vccz .LBB9_483
; %bb.482:
	global_load_ubyte v3, v[0:1], off
	s_mov_b32 s0, 0x7f800000
	s_waitcnt vmcnt(0)
	v_lshlrev_b32_e32 v3, 24, v3
	v_and_b32_e32 v4, 0x7f000000, v3
	v_ffbh_u32_e32 v5, v4
	v_min_u32_e32 v5, 32, v5
	v_sub_u32_e64 v5, v5, 4 clamp
	v_lshlrev_b32_e32 v7, v5, v4
	v_lshlrev_b32_e32 v5, 23, v5
	v_lshrrev_b32_e32 v7, 4, v7
	v_add_u32_e32 v6, 0x1000000, v4
	v_sub_u32_e32 v5, v7, v5
	v_ashrrev_i32_e32 v6, 8, v6
	v_add_u32_e32 v5, 0x3c000000, v5
	v_and_or_b32 v5, v6, s0, v5
	v_cmp_ne_u32_e32 vcc, 0, v4
	v_cndmask_b32_e32 v4, 0, v5, vcc
	s_brev_b32 s0, 1
	v_and_or_b32 v3, v3, s0, v4
	v_cvt_f64_f32_e32 v[3:4], v3
.LBB9_483:
	s_mov_b64 s[0:1], 0
.LBB9_484:
	s_andn2_b64 vcc, exec, s[0:1]
	s_cbranch_vccnz .LBB9_486
; %bb.485:
	global_load_ubyte v3, v[0:1], off
	s_movk_i32 s0, 0x7f00
	s_brev_b32 s1, 16
	s_waitcnt vmcnt(0)
	v_lshlrev_b16_e32 v4, 8, v3
	v_lshlrev_b32_e32 v3, 25, v3
	v_lshrrev_b32_e32 v5, 4, v3
	v_and_or_b32 v6, v4, s0, 0.5
	v_or_b32_e32 v5, 0x70000000, v5
	v_add_f32_e32 v6, -0.5, v6
	v_mul_f32_e32 v5, 0x7800000, v5
	v_cmp_gt_u32_e32 vcc, s1, v3
	v_bfe_i32 v4, v4, 0, 16
	v_cndmask_b32_e32 v3, v5, v6, vcc
	s_brev_b32 s0, 1
	v_and_or_b32 v3, v4, s0, v3
	v_cvt_f64_f32_e32 v[3:4], v3
.LBB9_486:
	s_mov_b64 s[8:9], 0
	s_mov_b64 s[0:1], -1
.LBB9_487:
	s_andn2_b64 vcc, exec, s[8:9]
	s_cbranch_vccnz .LBB9_498
; %bb.488:
	s_cmp_gt_i32 s12, 14
	s_cbranch_scc0 .LBB9_491
; %bb.489:
	s_cmp_eq_u32 s12, 15
	s_cbranch_scc0 .LBB9_492
; %bb.490:
	global_load_ushort v3, v[0:1], off
	s_mov_b64 s[0:1], -1
	s_mov_b64 s[2:3], 0
	s_waitcnt vmcnt(0)
	v_lshlrev_b32_e32 v3, 16, v3
	v_cvt_f64_f32_e32 v[3:4], v3
	s_branch .LBB9_493
.LBB9_491:
	s_mov_b64 s[8:9], -1
                                        ; implicit-def: $vgpr3_vgpr4
	s_branch .LBB9_494
.LBB9_492:
	s_mov_b64 s[2:3], -1
                                        ; implicit-def: $vgpr3_vgpr4
.LBB9_493:
	s_mov_b64 s[8:9], 0
.LBB9_494:
	s_and_b64 vcc, exec, s[8:9]
	s_cbranch_vccz .LBB9_498
; %bb.495:
	s_cmp_eq_u32 s12, 11
	s_cbranch_scc0 .LBB9_497
; %bb.496:
	global_load_ubyte v4, v[0:1], off
	v_mov_b32_e32 v5, 0x3ff00000
	s_waitcnt vmcnt(1)
	v_mov_b32_e32 v3, 0
	s_mov_b64 s[0:1], -1
	s_mov_b64 s[2:3], 0
	s_waitcnt vmcnt(0)
	v_cmp_ne_u16_e32 vcc, 0, v4
	v_cndmask_b32_e32 v4, 0, v5, vcc
	s_branch .LBB9_498
.LBB9_497:
	s_mov_b64 s[2:3], -1
                                        ; implicit-def: $vgpr3_vgpr4
.LBB9_498:
	s_branch .LBB9_297
.LBB9_499:
	s_cmp_lt_i32 s12, 5
	s_cbranch_scc1 .LBB9_504
; %bb.500:
	s_cmp_lt_i32 s12, 8
	s_cbranch_scc1 .LBB9_505
; %bb.501:
	;; [unrolled: 3-line block ×3, first 2 shown]
	s_cmp_gt_i32 s12, 9
	s_cbranch_scc0 .LBB9_507
; %bb.503:
	global_load_dwordx2 v[3:4], v[0:1], off
	s_mov_b64 s[0:1], 0
	s_branch .LBB9_508
.LBB9_504:
	s_mov_b64 s[0:1], -1
                                        ; implicit-def: $vgpr3_vgpr4
	s_branch .LBB9_526
.LBB9_505:
	s_mov_b64 s[0:1], -1
                                        ; implicit-def: $vgpr3_vgpr4
	s_branch .LBB9_514
.LBB9_506:
	s_mov_b64 s[0:1], -1
                                        ; implicit-def: $vgpr3_vgpr4
	s_branch .LBB9_511
.LBB9_507:
	s_mov_b64 s[0:1], -1
                                        ; implicit-def: $vgpr3_vgpr4
.LBB9_508:
	s_andn2_b64 vcc, exec, s[0:1]
	s_cbranch_vccnz .LBB9_510
; %bb.509:
	global_load_dword v3, v[0:1], off
	s_waitcnt vmcnt(0)
	v_cvt_f64_f32_e32 v[3:4], v3
.LBB9_510:
	s_mov_b64 s[0:1], 0
.LBB9_511:
	s_andn2_b64 vcc, exec, s[0:1]
	s_cbranch_vccnz .LBB9_513
; %bb.512:
	global_load_dword v3, v[0:1], off
	s_waitcnt vmcnt(0)
	v_cvt_f32_f16_e32 v3, v3
	v_cvt_f64_f32_e32 v[3:4], v3
.LBB9_513:
	s_mov_b64 s[0:1], 0
.LBB9_514:
	s_andn2_b64 vcc, exec, s[0:1]
	s_cbranch_vccnz .LBB9_525
; %bb.515:
	s_cmp_lt_i32 s12, 6
	s_cbranch_scc1 .LBB9_518
; %bb.516:
	s_cmp_gt_i32 s12, 6
	s_cbranch_scc0 .LBB9_519
; %bb.517:
	global_load_dwordx2 v[3:4], v[0:1], off
	s_mov_b64 s[0:1], 0
	s_branch .LBB9_520
.LBB9_518:
	s_mov_b64 s[0:1], -1
                                        ; implicit-def: $vgpr3_vgpr4
	s_branch .LBB9_523
.LBB9_519:
	s_mov_b64 s[0:1], -1
                                        ; implicit-def: $vgpr3_vgpr4
.LBB9_520:
	s_andn2_b64 vcc, exec, s[0:1]
	s_cbranch_vccnz .LBB9_522
; %bb.521:
	global_load_dword v3, v[0:1], off
	s_waitcnt vmcnt(0)
	v_cvt_f64_f32_e32 v[3:4], v3
.LBB9_522:
	s_mov_b64 s[0:1], 0
.LBB9_523:
	s_andn2_b64 vcc, exec, s[0:1]
	s_cbranch_vccnz .LBB9_525
; %bb.524:
	global_load_ushort v3, v[0:1], off
	s_waitcnt vmcnt(0)
	v_cvt_f32_f16_e32 v3, v3
	v_cvt_f64_f32_e32 v[3:4], v3
.LBB9_525:
	s_mov_b64 s[0:1], 0
.LBB9_526:
	s_andn2_b64 vcc, exec, s[0:1]
	s_cbranch_vccnz .LBB9_546
; %bb.527:
	s_cmp_lt_i32 s12, 2
	s_cbranch_scc1 .LBB9_531
; %bb.528:
	s_cmp_lt_i32 s12, 3
	s_cbranch_scc1 .LBB9_532
; %bb.529:
	s_cmp_gt_i32 s12, 3
	s_cbranch_scc0 .LBB9_533
; %bb.530:
	global_load_dwordx2 v[3:4], v[0:1], off
	s_mov_b64 s[0:1], 0
	s_waitcnt vmcnt(0)
	v_cvt_f64_i32_e32 v[4:5], v4
	v_cvt_f64_u32_e32 v[6:7], v3
	v_ldexp_f64 v[4:5], v[4:5], 32
	v_add_f64 v[3:4], v[4:5], v[6:7]
	s_branch .LBB9_534
.LBB9_531:
	s_mov_b64 s[0:1], -1
                                        ; implicit-def: $vgpr3_vgpr4
	s_branch .LBB9_540
.LBB9_532:
	s_mov_b64 s[0:1], -1
                                        ; implicit-def: $vgpr3_vgpr4
	s_branch .LBB9_537
.LBB9_533:
	s_mov_b64 s[0:1], -1
                                        ; implicit-def: $vgpr3_vgpr4
.LBB9_534:
	s_andn2_b64 vcc, exec, s[0:1]
	s_cbranch_vccnz .LBB9_536
; %bb.535:
	global_load_dword v3, v[0:1], off
	s_waitcnt vmcnt(0)
	v_cvt_f64_i32_e32 v[3:4], v3
.LBB9_536:
	s_mov_b64 s[0:1], 0
.LBB9_537:
	s_andn2_b64 vcc, exec, s[0:1]
	s_cbranch_vccnz .LBB9_539
; %bb.538:
	global_load_sshort v3, v[0:1], off
	s_waitcnt vmcnt(0)
	v_cvt_f64_i32_e32 v[3:4], v3
.LBB9_539:
	s_mov_b64 s[0:1], 0
.LBB9_540:
	s_andn2_b64 vcc, exec, s[0:1]
	s_cbranch_vccnz .LBB9_546
; %bb.541:
	s_cmp_gt_i32 s12, 0
	s_cbranch_scc0 .LBB9_543
; %bb.542:
	global_load_sbyte v3, v[0:1], off
	s_mov_b64 s[0:1], 0
	s_waitcnt vmcnt(0)
	v_cvt_f64_i32_e32 v[3:4], v3
	s_branch .LBB9_544
.LBB9_543:
	s_mov_b64 s[0:1], -1
                                        ; implicit-def: $vgpr3_vgpr4
.LBB9_544:
	s_andn2_b64 vcc, exec, s[0:1]
	s_cbranch_vccnz .LBB9_546
; %bb.545:
	global_load_ubyte v0, v[0:1], off
	s_waitcnt vmcnt(0)
	v_cvt_f64_u32_e32 v[3:4], v0
.LBB9_546:
	s_branch .LBB9_298
.LBB9_547:
	s_mov_b64 s[8:9], 0
	s_mov_b64 s[0:1], s[52:53]
.LBB9_548:
                                        ; implicit-def: $vgpr11
.LBB9_549:
	s_andn2_b64 s[10:11], s[52:53], exec
	s_and_b64 s[0:1], s[0:1], exec
	s_or_b64 s[60:61], s[10:11], s[0:1]
	s_andn2_b64 s[0:1], s[54:55], exec
	s_and_b64 s[2:3], s[2:3], exec
	s_or_b64 s[58:59], s[0:1], s[2:3]
	s_orn2_b64 s[0:1], s[8:9], exec
.LBB9_550:
	s_or_b64 exec, exec, s[62:63]
	s_mov_b64 s[2:3], 0
	s_mov_b64 s[8:9], 0
	;; [unrolled: 1-line block ×3, first 2 shown]
                                        ; implicit-def: $vgpr0_vgpr1
                                        ; implicit-def: $vgpr2
                                        ; implicit-def: $vgpr3_vgpr4
	s_and_saveexec_b64 s[62:63], s[0:1]
	s_cbranch_execz .LBB9_929
; %bb.551:
	v_cmp_gt_i32_e32 vcc, s70, v11
	s_mov_b64 s[2:3], -1
	s_mov_b64 s[66:67], s[58:59]
	s_mov_b64 s[68:69], s[60:61]
	s_and_saveexec_b64 s[64:65], vcc
	s_cbranch_execz .LBB9_829
; %bb.552:
	s_andn2_b64 vcc, exec, s[40:41]
	s_cbranch_vccnz .LBB9_557
; %bb.553:
	s_andn2_b64 vcc, exec, s[50:51]
	s_cbranch_vccnz .LBB9_558
; %bb.554:
	s_add_i32 s76, s75, 1
	s_cmp_eq_u32 s72, 2
	s_cbranch_scc1 .LBB9_559
; %bb.555:
	s_and_b32 s71, s76, 28
	v_mov_b32_e32 v0, 0
	s_mov_b32 s77, 0
	s_mov_b64 s[66:67], s[34:35]
	s_mov_b64 s[68:69], s[48:49]
	v_mov_b32_e32 v2, 0
	v_mov_b32_e32 v1, v11
.LBB9_556:                              ; =>This Inner Loop Header: Depth=1
	s_load_dwordx8 s[16:23], s[66:67], 0x4
	s_load_dwordx4 s[0:3], s[66:67], 0x24
	s_load_dwordx8 s[8:15], s[68:69], 0x0
	s_add_u32 s66, s66, 48
	s_addc_u32 s67, s67, 0
	s_waitcnt vmcnt(0) lgkmcnt(0)
	v_mul_hi_u32 v3, s17, v1
	s_add_i32 s77, s77, 4
	s_add_u32 s68, s68, 32
	s_addc_u32 s69, s69, 0
	v_add_u32_e32 v3, v1, v3
	v_lshrrev_b32_e32 v3, s18, v3
	v_mul_lo_u32 v4, v3, s16
	v_mul_hi_u32 v5, s20, v3
	s_cmp_eq_u32 s71, s77
	v_sub_u32_e32 v1, v1, v4
	v_add_u32_e32 v4, v3, v5
	v_mul_lo_u32 v5, v1, s8
	v_mul_lo_u32 v6, v1, s9
	v_lshrrev_b32_e32 v1, s21, v4
	v_mul_lo_u32 v4, v1, s19
	v_mul_hi_u32 v7, s23, v1
	v_sub_u32_e32 v3, v3, v4
	v_add_u32_e32 v4, v1, v7
	v_lshrrev_b32_e32 v4, s0, v4
	v_mul_hi_u32 v8, s2, v4
	v_mul_lo_u32 v9, v4, s22
	v_mul_lo_u32 v7, v3, s10
	;; [unrolled: 1-line block ×3, first 2 shown]
	v_sub_u32_e32 v9, v1, v9
	v_add_u32_e32 v1, v4, v8
	v_lshrrev_b32_e32 v1, s3, v1
	v_mul_lo_u32 v8, v1, s1
	v_mul_lo_u32 v10, v9, s12
	;; [unrolled: 1-line block ×3, first 2 shown]
	v_add3_u32 v2, v5, v2, v7
	v_sub_u32_e32 v4, v4, v8
	v_mul_lo_u32 v8, v4, s14
	v_mul_lo_u32 v4, v4, s15
	v_add3_u32 v0, v6, v0, v3
	v_add3_u32 v2, v10, v2, v8
	;; [unrolled: 1-line block ×3, first 2 shown]
	s_cbranch_scc0 .LBB9_556
	s_branch .LBB9_560
.LBB9_557:
	s_mov_b64 s[0:1], -1
                                        ; implicit-def: $vgpr2
                                        ; implicit-def: $vgpr0
	s_branch .LBB9_564
.LBB9_558:
	v_mov_b32_e32 v2, 0
	v_mov_b32_e32 v0, 0
	s_branch .LBB9_563
.LBB9_559:
	s_mov_b32 s71, 0
	v_mov_b32_e32 v2, 0
	v_mov_b32_e32 v0, 0
	;; [unrolled: 1-line block ×3, first 2 shown]
.LBB9_560:
	s_and_b32 s8, s76, 3
	s_cmp_eq_u32 s8, 0
	s_cbranch_scc1 .LBB9_563
; %bb.561:
	s_lshl_b32 s0, s71, 3
	s_add_u32 s0, s34, s0
	s_addc_u32 s1, s35, 0
	s_add_u32 s0, s0, 0xc4
	s_addc_u32 s1, s1, 0
	s_mul_i32 s2, s71, 12
	s_add_u32 s2, s34, s2
	s_addc_u32 s3, s35, 0
.LBB9_562:                              ; =>This Inner Loop Header: Depth=1
	s_load_dwordx2 s[10:11], s[2:3], 0x4
	s_load_dword s9, s[2:3], 0xc
	s_load_dwordx2 s[12:13], s[0:1], 0x0
	s_add_u32 s2, s2, 12
	s_addc_u32 s3, s3, 0
	s_waitcnt vmcnt(0) lgkmcnt(0)
	v_mul_hi_u32 v3, s11, v1
	s_add_u32 s0, s0, 8
	s_addc_u32 s1, s1, 0
	s_add_i32 s8, s8, -1
	v_add_u32_e32 v3, v1, v3
	v_lshrrev_b32_e32 v4, s9, v3
	v_mul_lo_u32 v3, v4, s10
	s_cmp_lg_u32 s8, 0
	v_sub_u32_e32 v1, v1, v3
	v_mad_u64_u32 v[2:3], s[10:11], v1, s12, v[2:3]
	v_mad_u64_u32 v[0:1], s[10:11], v1, s13, v[0:1]
	v_mov_b32_e32 v1, v4
	s_cbranch_scc1 .LBB9_562
.LBB9_563:
	s_mov_b64 s[0:1], 0
.LBB9_564:
	s_andn2_b64 vcc, exec, s[0:1]
	s_cbranch_vccnz .LBB9_567
; %bb.565:
	s_waitcnt lgkmcnt(0)
	v_mul_hi_u32 v0, s37, v11
	s_andn2_b64 vcc, exec, s[46:47]
	v_add_u32_e32 v0, v11, v0
	v_lshrrev_b32_e32 v1, s38, v0
	v_mul_lo_u32 v0, v1, s36
	v_sub_u32_e32 v0, v11, v0
	v_mul_lo_u32 v2, v0, s28
	v_mul_lo_u32 v0, v0, s29
	s_cbranch_vccnz .LBB9_567
; %bb.566:
	s_waitcnt vmcnt(0)
	v_mul_hi_u32 v3, s44, v1
	v_add_u32_e32 v3, v1, v3
	v_lshrrev_b32_e32 v3, s45, v3
	v_mul_lo_u32 v3, v3, s39
	v_sub_u32_e32 v1, v1, v3
	v_mad_u64_u32 v[2:3], s[0:1], v1, s30, v[2:3]
	v_mad_u64_u32 v[0:1], s[0:1], v1, s31, v[0:1]
.LBB9_567:
	s_waitcnt lgkmcnt(0)
	v_mov_b32_e32 v1, s27
	s_and_b32 s12, 0xffff, s74
	v_add_co_u32_e32 v0, vcc, s26, v0
	s_cmp_lt_i32 s12, 11
	v_addc_co_u32_e32 v1, vcc, 0, v1, vcc
	s_cbranch_scc1 .LBB9_574
; %bb.568:
	s_cmp_gt_i32 s12, 25
	s_cbranch_scc0 .LBB9_575
; %bb.569:
	s_cmp_gt_i32 s12, 28
	s_cbranch_scc0 .LBB9_576
; %bb.570:
	s_cmp_gt_i32 s12, 43
	s_cbranch_scc0 .LBB9_577
; %bb.571:
	s_cmp_gt_i32 s12, 45
	s_cbranch_scc0 .LBB9_580
; %bb.572:
	s_cmp_eq_u32 s12, 46
	s_mov_b64 s[8:9], 0
	s_cbranch_scc0 .LBB9_583
; %bb.573:
	global_load_dword v3, v[0:1], off
	s_mov_b64 s[0:1], -1
	s_mov_b64 s[2:3], 0
	s_waitcnt vmcnt(0)
	v_lshlrev_b32_e32 v3, 16, v3
	v_cvt_f64_f32_e32 v[3:4], v3
	s_branch .LBB9_584
.LBB9_574:
	s_mov_b64 s[8:9], -1
	s_mov_b64 s[0:1], 0
                                        ; implicit-def: $vgpr3_vgpr4
	s_mov_b64 s[2:3], s[58:59]
	s_branch .LBB9_649
.LBB9_575:
	s_mov_b64 s[8:9], -1
	s_mov_b64 s[0:1], 0
	s_mov_b64 s[2:3], s[58:59]
                                        ; implicit-def: $vgpr3_vgpr4
	s_branch .LBB9_615
.LBB9_576:
	s_mov_b64 s[8:9], -1
	s_mov_b64 s[0:1], 0
	s_mov_b64 s[2:3], s[58:59]
                                        ; implicit-def: $vgpr3_vgpr4
	s_branch .LBB9_594
.LBB9_577:
	s_mov_b64 s[8:9], -1
	s_mov_b64 s[0:1], 0
	s_mov_b64 s[2:3], s[58:59]
                                        ; implicit-def: $vgpr3_vgpr4
	s_branch .LBB9_589
.LBB9_578:
	s_andn2_saveexec_b64 s[12:13], s[12:13]
	s_cbranch_execz .LBB9_347
.LBB9_579:
	s_mov_b32 s16, 0x46000000
	v_add_f32_e64 v3, |v2|, s16
	v_and_b32_e32 v3, 0xff, v3
	v_cmp_ne_u32_e32 vcc, 0, v3
	s_andn2_b64 s[10:11], s[10:11], exec
	s_and_b64 s[16:17], vcc, exec
	s_or_b64 s[10:11], s[10:11], s[16:17]
	s_or_b64 exec, exec, s[12:13]
	v_mov_b32_e32 v6, 0
	s_and_saveexec_b64 s[12:13], s[10:11]
	s_cbranch_execnz .LBB9_348
	s_branch .LBB9_349
.LBB9_580:
	s_mov_b64 s[8:9], -1
	s_mov_b64 s[0:1], 0
	s_mov_b64 s[2:3], s[58:59]
                                        ; implicit-def: $vgpr3_vgpr4
	s_branch .LBB9_584
.LBB9_581:
	s_andn2_saveexec_b64 s[12:13], s[12:13]
	s_cbranch_execz .LBB9_360
.LBB9_582:
	s_mov_b32 s16, 0x42800000
	v_add_f32_e64 v3, |v2|, s16
	v_and_b32_e32 v3, 0xff, v3
	v_cmp_ne_u32_e32 vcc, 0, v3
	s_andn2_b64 s[10:11], s[10:11], exec
	s_and_b64 s[16:17], vcc, exec
	s_or_b64 s[10:11], s[10:11], s[16:17]
	s_or_b64 exec, exec, s[12:13]
	v_mov_b32_e32 v6, 0
	s_and_saveexec_b64 s[12:13], s[10:11]
	s_cbranch_execnz .LBB9_361
	s_branch .LBB9_362
.LBB9_583:
	s_mov_b64 s[2:3], -1
                                        ; implicit-def: $vgpr3_vgpr4
	s_mov_b64 s[0:1], 0
.LBB9_584:
	s_and_b64 vcc, exec, s[8:9]
	s_cbranch_vccz .LBB9_588
; %bb.585:
	s_cmp_eq_u32 s12, 44
	s_cbranch_scc0 .LBB9_587
; %bb.586:
	global_load_ubyte v5, v[0:1], off
	s_movk_i32 s2, 0xff
	v_bfrev_b32_e32 v6, 4
	v_mov_b32_e32 v7, 0x7ff80000
	v_bfrev_b32_e32 v8, 28
	s_mov_b64 s[0:1], -1
	s_waitcnt vmcnt(0)
	v_lshlrev_b32_e32 v3, 23, v5
	v_cvt_f64_f32_e32 v[3:4], v3
	v_cmp_ne_u32_e32 vcc, s2, v5
	s_mov_b64 s[2:3], 0
	v_cndmask_b32_e32 v3, v6, v3, vcc
	v_cndmask_b32_e32 v4, v7, v4, vcc
	v_cmp_ne_u32_e32 vcc, 0, v5
	v_cndmask_b32_e32 v4, v8, v4, vcc
	v_cndmask_b32_e32 v3, 0, v3, vcc
	s_branch .LBB9_588
.LBB9_587:
	s_mov_b64 s[2:3], -1
                                        ; implicit-def: $vgpr3_vgpr4
.LBB9_588:
	s_mov_b64 s[8:9], 0
.LBB9_589:
	s_and_b64 vcc, exec, s[8:9]
	s_cbranch_vccz .LBB9_593
; %bb.590:
	s_cmp_eq_u32 s12, 29
	s_cbranch_scc0 .LBB9_592
; %bb.591:
	global_load_dwordx2 v[3:4], v[0:1], off
	s_mov_b64 s[0:1], -1
	s_mov_b64 s[2:3], 0
	s_mov_b64 s[8:9], 0
	s_waitcnt vmcnt(0)
	v_cvt_f64_u32_e32 v[4:5], v4
	v_cvt_f64_u32_e32 v[6:7], v3
	v_ldexp_f64 v[4:5], v[4:5], 32
	v_add_f64 v[3:4], v[4:5], v[6:7]
	s_branch .LBB9_594
.LBB9_592:
	s_mov_b64 s[2:3], -1
                                        ; implicit-def: $vgpr3_vgpr4
.LBB9_593:
	s_mov_b64 s[8:9], 0
.LBB9_594:
	s_and_b64 vcc, exec, s[8:9]
	s_cbranch_vccz .LBB9_614
; %bb.595:
	s_cmp_lt_i32 s12, 27
	s_cbranch_scc1 .LBB9_598
; %bb.596:
	s_cmp_gt_i32 s12, 27
	s_cbranch_scc0 .LBB9_599
; %bb.597:
	global_load_dword v3, v[0:1], off
	s_mov_b64 s[0:1], 0
	s_waitcnt vmcnt(0)
	v_cvt_f64_u32_e32 v[3:4], v3
	s_branch .LBB9_600
.LBB9_598:
	s_mov_b64 s[0:1], -1
                                        ; implicit-def: $vgpr3_vgpr4
	s_branch .LBB9_603
.LBB9_599:
	s_mov_b64 s[0:1], -1
                                        ; implicit-def: $vgpr3_vgpr4
.LBB9_600:
	s_andn2_b64 vcc, exec, s[0:1]
	s_cbranch_vccnz .LBB9_602
; %bb.601:
	global_load_ushort v3, v[0:1], off
	s_waitcnt vmcnt(0)
	v_cvt_f64_u32_e32 v[3:4], v3
.LBB9_602:
	s_mov_b64 s[0:1], 0
.LBB9_603:
	s_andn2_b64 vcc, exec, s[0:1]
	s_cbranch_vccnz .LBB9_613
; %bb.604:
	global_load_ubyte v5, v[0:1], off
	s_movk_i32 s0, 0x7f
	s_waitcnt vmcnt(0)
	v_cmp_lt_i16_e32 vcc, s0, v5
	s_mov_b64 s[0:1], 0
	s_and_saveexec_b64 s[8:9], vcc
	s_xor_b64 s[8:9], exec, s[8:9]
	s_cbranch_execz .LBB9_608
; %bb.605:
	s_movk_i32 s0, 0x80
	v_cmp_eq_u16_e32 vcc, s0, v5
	s_mov_b64 s[0:1], -1
	s_and_saveexec_b64 s[10:11], vcc
; %bb.606:
	s_xor_b64 s[0:1], exec, -1
; %bb.607:
	s_or_b64 exec, exec, s[10:11]
	s_and_b64 s[0:1], s[0:1], exec
.LBB9_608:
	s_or_saveexec_b64 s[8:9], s[8:9]
	v_bfrev_b32_e32 v3, 4
	v_mov_b32_e32 v4, 0x7ff80000
	s_xor_b64 exec, exec, s[8:9]
; %bb.609:
	v_cmp_ne_u16_e32 vcc, 0, v5
	v_mov_b32_e32 v3, 0
	s_andn2_b64 s[0:1], s[0:1], exec
	s_and_b64 s[10:11], vcc, exec
	v_mov_b32_e32 v4, 0
	s_or_b64 s[0:1], s[0:1], s[10:11]
; %bb.610:
	s_or_b64 exec, exec, s[8:9]
	s_and_saveexec_b64 s[8:9], s[0:1]
	s_cbranch_execz .LBB9_612
; %bb.611:
	v_and_b32_e32 v4, 0xffff, v5
	v_lshlrev_b32_e32 v3, 24, v5
	v_and_b32_e32 v5, 7, v4
	v_ffbh_u32_e32 v7, v5
	v_min_u32_e32 v7, 32, v7
	v_subrev_u32_e32 v8, 28, v7
	v_bfe_u32 v6, v4, 3, 4
	v_lshlrev_b32_e32 v4, v8, v4
	v_sub_u32_e32 v7, 29, v7
	v_and_b32_e32 v4, 7, v4
	v_cmp_eq_u32_e32 vcc, 0, v6
	v_cndmask_b32_e32 v6, v6, v7, vcc
	v_cndmask_b32_e32 v4, v5, v4, vcc
	v_mov_b32_e32 v5, 0x3b800000
	v_lshlrev_b32_e32 v4, 20, v4
	v_and_b32_e32 v3, 0x80000000, v3
	v_lshl_add_u32 v5, v6, 23, v5
	v_or3_b32 v3, v3, v5, v4
	v_cvt_f64_f32_e32 v[3:4], v3
.LBB9_612:
	s_or_b64 exec, exec, s[8:9]
.LBB9_613:
	s_mov_b64 s[0:1], -1
.LBB9_614:
	s_mov_b64 s[8:9], 0
.LBB9_615:
	s_and_b64 vcc, exec, s[8:9]
	s_cbranch_vccz .LBB9_648
; %bb.616:
	s_cmp_gt_i32 s12, 22
	s_cbranch_scc0 .LBB9_628
; %bb.617:
	s_cmp_lt_i32 s12, 24
	s_cbranch_scc1 .LBB9_629
; %bb.618:
	s_cmp_gt_i32 s12, 24
	s_cbranch_scc0 .LBB9_630
; %bb.619:
	global_load_ubyte v5, v[0:1], off
	s_movk_i32 s0, 0x7f
	s_waitcnt vmcnt(0)
	v_cmp_lt_i16_e32 vcc, s0, v5
	s_mov_b64 s[0:1], 0
	s_and_saveexec_b64 s[8:9], vcc
	s_xor_b64 s[8:9], exec, s[8:9]
	s_cbranch_execz .LBB9_623
; %bb.620:
	s_movk_i32 s0, 0x80
	v_cmp_eq_u16_e32 vcc, s0, v5
	s_mov_b64 s[0:1], -1
	s_and_saveexec_b64 s[10:11], vcc
; %bb.621:
	s_xor_b64 s[0:1], exec, -1
; %bb.622:
	s_or_b64 exec, exec, s[10:11]
	s_and_b64 s[0:1], s[0:1], exec
.LBB9_623:
	s_or_saveexec_b64 s[8:9], s[8:9]
	v_bfrev_b32_e32 v3, 4
	v_mov_b32_e32 v4, 0x7ff80000
	s_xor_b64 exec, exec, s[8:9]
; %bb.624:
	v_cmp_ne_u16_e32 vcc, 0, v5
	v_mov_b32_e32 v3, 0
	s_andn2_b64 s[0:1], s[0:1], exec
	s_and_b64 s[10:11], vcc, exec
	v_mov_b32_e32 v4, 0
	s_or_b64 s[0:1], s[0:1], s[10:11]
; %bb.625:
	s_or_b64 exec, exec, s[8:9]
	s_and_saveexec_b64 s[8:9], s[0:1]
	s_cbranch_execz .LBB9_627
; %bb.626:
	v_and_b32_e32 v4, 0xffff, v5
	v_lshlrev_b32_e32 v3, 24, v5
	v_and_b32_e32 v5, 3, v4
	v_ffbh_u32_e32 v7, v5
	v_min_u32_e32 v7, 32, v7
	v_subrev_u32_e32 v8, 29, v7
	v_bfe_u32 v6, v4, 2, 5
	v_lshlrev_b32_e32 v4, v8, v4
	v_sub_u32_e32 v7, 30, v7
	v_and_b32_e32 v4, 3, v4
	v_cmp_eq_u32_e32 vcc, 0, v6
	v_cndmask_b32_e32 v6, v6, v7, vcc
	v_cndmask_b32_e32 v4, v5, v4, vcc
	v_mov_b32_e32 v5, 0x37800000
	v_lshlrev_b32_e32 v4, 21, v4
	v_and_b32_e32 v3, 0x80000000, v3
	v_lshl_add_u32 v5, v6, 23, v5
	v_or3_b32 v3, v3, v5, v4
	v_cvt_f64_f32_e32 v[3:4], v3
.LBB9_627:
	s_or_b64 exec, exec, s[8:9]
	s_mov_b64 s[0:1], 0
	s_branch .LBB9_631
.LBB9_628:
	s_mov_b64 s[8:9], -1
                                        ; implicit-def: $vgpr3_vgpr4
	s_branch .LBB9_637
.LBB9_629:
	s_mov_b64 s[0:1], -1
                                        ; implicit-def: $vgpr3_vgpr4
	s_branch .LBB9_634
.LBB9_630:
	s_mov_b64 s[0:1], -1
                                        ; implicit-def: $vgpr3_vgpr4
.LBB9_631:
	s_and_b64 vcc, exec, s[0:1]
	s_cbranch_vccz .LBB9_633
; %bb.632:
	global_load_ubyte v3, v[0:1], off
	s_mov_b32 s0, 0x7f800000
	s_waitcnt vmcnt(0)
	v_lshlrev_b32_e32 v3, 24, v3
	v_and_b32_e32 v4, 0x7f000000, v3
	v_ffbh_u32_e32 v5, v4
	v_min_u32_e32 v5, 32, v5
	v_sub_u32_e64 v5, v5, 4 clamp
	v_lshlrev_b32_e32 v7, v5, v4
	v_lshlrev_b32_e32 v5, 23, v5
	v_lshrrev_b32_e32 v7, 4, v7
	v_add_u32_e32 v6, 0x1000000, v4
	v_sub_u32_e32 v5, v7, v5
	v_ashrrev_i32_e32 v6, 8, v6
	v_add_u32_e32 v5, 0x3c000000, v5
	v_and_or_b32 v5, v6, s0, v5
	v_cmp_ne_u32_e32 vcc, 0, v4
	v_cndmask_b32_e32 v4, 0, v5, vcc
	s_brev_b32 s0, 1
	v_and_or_b32 v3, v3, s0, v4
	v_cvt_f64_f32_e32 v[3:4], v3
.LBB9_633:
	s_mov_b64 s[0:1], 0
.LBB9_634:
	s_andn2_b64 vcc, exec, s[0:1]
	s_cbranch_vccnz .LBB9_636
; %bb.635:
	global_load_ubyte v3, v[0:1], off
	s_movk_i32 s0, 0x7f00
	s_brev_b32 s1, 16
	s_waitcnt vmcnt(0)
	v_lshlrev_b16_e32 v4, 8, v3
	v_lshlrev_b32_e32 v3, 25, v3
	v_lshrrev_b32_e32 v5, 4, v3
	v_and_or_b32 v6, v4, s0, 0.5
	v_or_b32_e32 v5, 0x70000000, v5
	v_add_f32_e32 v6, -0.5, v6
	v_mul_f32_e32 v5, 0x7800000, v5
	v_cmp_gt_u32_e32 vcc, s1, v3
	v_bfe_i32 v4, v4, 0, 16
	v_cndmask_b32_e32 v3, v5, v6, vcc
	s_brev_b32 s0, 1
	v_and_or_b32 v3, v4, s0, v3
	v_cvt_f64_f32_e32 v[3:4], v3
.LBB9_636:
	s_mov_b64 s[8:9], 0
	s_mov_b64 s[0:1], -1
.LBB9_637:
	s_andn2_b64 vcc, exec, s[8:9]
	s_cbranch_vccnz .LBB9_648
; %bb.638:
	s_cmp_gt_i32 s12, 14
	s_cbranch_scc0 .LBB9_641
; %bb.639:
	s_cmp_eq_u32 s12, 15
	s_cbranch_scc0 .LBB9_642
; %bb.640:
	global_load_ushort v3, v[0:1], off
	s_mov_b64 s[0:1], -1
	s_mov_b64 s[2:3], 0
	s_waitcnt vmcnt(0)
	v_lshlrev_b32_e32 v3, 16, v3
	v_cvt_f64_f32_e32 v[3:4], v3
	s_branch .LBB9_643
.LBB9_641:
	s_mov_b64 s[8:9], -1
                                        ; implicit-def: $vgpr3_vgpr4
	s_branch .LBB9_644
.LBB9_642:
	s_mov_b64 s[2:3], -1
                                        ; implicit-def: $vgpr3_vgpr4
.LBB9_643:
	s_mov_b64 s[8:9], 0
.LBB9_644:
	s_and_b64 vcc, exec, s[8:9]
	s_cbranch_vccz .LBB9_648
; %bb.645:
	s_cmp_eq_u32 s12, 11
	s_cbranch_scc0 .LBB9_647
; %bb.646:
	global_load_ubyte v4, v[0:1], off
	v_mov_b32_e32 v5, 0x3ff00000
	s_waitcnt vmcnt(1)
	v_mov_b32_e32 v3, 0
	s_mov_b64 s[0:1], -1
	s_mov_b64 s[2:3], 0
	s_waitcnt vmcnt(0)
	v_cmp_ne_u16_e32 vcc, 0, v4
	v_cndmask_b32_e32 v4, 0, v5, vcc
	s_branch .LBB9_648
.LBB9_647:
	s_mov_b64 s[2:3], -1
                                        ; implicit-def: $vgpr3_vgpr4
.LBB9_648:
	s_mov_b64 s[8:9], 0
.LBB9_649:
	s_and_b64 vcc, exec, s[8:9]
	s_cbranch_vccz .LBB9_698
; %bb.650:
	s_cmp_lt_i32 s12, 5
	s_cbranch_scc1 .LBB9_655
; %bb.651:
	s_cmp_lt_i32 s12, 8
	s_cbranch_scc1 .LBB9_656
	;; [unrolled: 3-line block ×3, first 2 shown]
; %bb.653:
	s_cmp_gt_i32 s12, 9
	s_cbranch_scc0 .LBB9_658
; %bb.654:
	global_load_dwordx2 v[3:4], v[0:1], off
	s_mov_b64 s[0:1], 0
	s_branch .LBB9_659
.LBB9_655:
	s_mov_b64 s[0:1], -1
                                        ; implicit-def: $vgpr3_vgpr4
	s_branch .LBB9_677
.LBB9_656:
	s_mov_b64 s[0:1], -1
                                        ; implicit-def: $vgpr3_vgpr4
	s_branch .LBB9_665
.LBB9_657:
	s_mov_b64 s[0:1], -1
                                        ; implicit-def: $vgpr3_vgpr4
	s_branch .LBB9_662
.LBB9_658:
	s_mov_b64 s[0:1], -1
                                        ; implicit-def: $vgpr3_vgpr4
.LBB9_659:
	s_andn2_b64 vcc, exec, s[0:1]
	s_cbranch_vccnz .LBB9_661
; %bb.660:
	global_load_dword v3, v[0:1], off
	s_waitcnt vmcnt(0)
	v_cvt_f64_f32_e32 v[3:4], v3
.LBB9_661:
	s_mov_b64 s[0:1], 0
.LBB9_662:
	s_andn2_b64 vcc, exec, s[0:1]
	s_cbranch_vccnz .LBB9_664
; %bb.663:
	global_load_dword v3, v[0:1], off
	s_waitcnt vmcnt(0)
	v_cvt_f32_f16_e32 v3, v3
	v_cvt_f64_f32_e32 v[3:4], v3
.LBB9_664:
	s_mov_b64 s[0:1], 0
.LBB9_665:
	s_andn2_b64 vcc, exec, s[0:1]
	s_cbranch_vccnz .LBB9_676
; %bb.666:
	s_cmp_lt_i32 s12, 6
	s_cbranch_scc1 .LBB9_669
; %bb.667:
	s_cmp_gt_i32 s12, 6
	s_cbranch_scc0 .LBB9_670
; %bb.668:
	global_load_dwordx2 v[3:4], v[0:1], off
	s_mov_b64 s[0:1], 0
	s_branch .LBB9_671
.LBB9_669:
	s_mov_b64 s[0:1], -1
                                        ; implicit-def: $vgpr3_vgpr4
	s_branch .LBB9_674
.LBB9_670:
	s_mov_b64 s[0:1], -1
                                        ; implicit-def: $vgpr3_vgpr4
.LBB9_671:
	s_andn2_b64 vcc, exec, s[0:1]
	s_cbranch_vccnz .LBB9_673
; %bb.672:
	global_load_dword v3, v[0:1], off
	s_waitcnt vmcnt(0)
	v_cvt_f64_f32_e32 v[3:4], v3
.LBB9_673:
	s_mov_b64 s[0:1], 0
.LBB9_674:
	s_andn2_b64 vcc, exec, s[0:1]
	s_cbranch_vccnz .LBB9_676
; %bb.675:
	global_load_ushort v3, v[0:1], off
	s_waitcnt vmcnt(0)
	v_cvt_f32_f16_e32 v3, v3
	v_cvt_f64_f32_e32 v[3:4], v3
.LBB9_676:
	s_mov_b64 s[0:1], 0
.LBB9_677:
	s_andn2_b64 vcc, exec, s[0:1]
	s_cbranch_vccnz .LBB9_697
; %bb.678:
	s_cmp_lt_i32 s12, 2
	s_cbranch_scc1 .LBB9_682
; %bb.679:
	s_cmp_lt_i32 s12, 3
	s_cbranch_scc1 .LBB9_683
; %bb.680:
	s_cmp_gt_i32 s12, 3
	s_cbranch_scc0 .LBB9_684
; %bb.681:
	global_load_dwordx2 v[3:4], v[0:1], off
	s_mov_b64 s[0:1], 0
	s_waitcnt vmcnt(0)
	v_cvt_f64_i32_e32 v[4:5], v4
	v_cvt_f64_u32_e32 v[6:7], v3
	v_ldexp_f64 v[4:5], v[4:5], 32
	v_add_f64 v[3:4], v[4:5], v[6:7]
	s_branch .LBB9_685
.LBB9_682:
	s_mov_b64 s[0:1], -1
                                        ; implicit-def: $vgpr3_vgpr4
	s_branch .LBB9_691
.LBB9_683:
	s_mov_b64 s[0:1], -1
                                        ; implicit-def: $vgpr3_vgpr4
	s_branch .LBB9_688
.LBB9_684:
	s_mov_b64 s[0:1], -1
                                        ; implicit-def: $vgpr3_vgpr4
.LBB9_685:
	s_andn2_b64 vcc, exec, s[0:1]
	s_cbranch_vccnz .LBB9_687
; %bb.686:
	global_load_dword v3, v[0:1], off
	s_waitcnt vmcnt(0)
	v_cvt_f64_i32_e32 v[3:4], v3
.LBB9_687:
	s_mov_b64 s[0:1], 0
.LBB9_688:
	s_andn2_b64 vcc, exec, s[0:1]
	s_cbranch_vccnz .LBB9_690
; %bb.689:
	global_load_sshort v3, v[0:1], off
	s_waitcnt vmcnt(0)
	v_cvt_f64_i32_e32 v[3:4], v3
.LBB9_690:
	s_mov_b64 s[0:1], 0
.LBB9_691:
	s_andn2_b64 vcc, exec, s[0:1]
	s_cbranch_vccnz .LBB9_697
; %bb.692:
	s_cmp_gt_i32 s12, 0
	s_cbranch_scc0 .LBB9_694
; %bb.693:
	global_load_sbyte v3, v[0:1], off
	s_mov_b64 s[0:1], 0
	s_waitcnt vmcnt(0)
	v_cvt_f64_i32_e32 v[3:4], v3
	s_branch .LBB9_695
.LBB9_694:
	s_mov_b64 s[0:1], -1
                                        ; implicit-def: $vgpr3_vgpr4
.LBB9_695:
	s_andn2_b64 vcc, exec, s[0:1]
	s_cbranch_vccnz .LBB9_697
; %bb.696:
	global_load_ubyte v0, v[0:1], off
	s_waitcnt vmcnt(0)
	v_cvt_f64_u32_e32 v[3:4], v0
.LBB9_697:
	s_mov_b64 s[0:1], -1
.LBB9_698:
	s_andn2_b64 vcc, exec, s[0:1]
	s_cbranch_vccnz .LBB9_710
; %bb.699:
	s_mov_b32 s0, 0
	s_mov_b32 s1, 0x40200000
	s_waitcnt vmcnt(0)
	v_cmp_le_f64_e64 s[0:1], |v[3:4]|, s[0:1]
                                        ; implicit-def: $vgpr0_vgpr1
	s_and_saveexec_b64 s[8:9], s[0:1]
	s_xor_b64 s[0:1], exec, s[8:9]
	s_cbranch_execz .LBB9_701
; %bb.700:
	v_fma_f64 v[0:1], |v[3:4]|, 0.5, -2.0
	v_mov_b32_e32 v5, 0x977da589
	v_mov_b32_e32 v6, 0x3c833362
	s_mov_b32 s9, 0xbc545cb7
	s_mov_b32 s8, 0x2134d0ef
	;; [unrolled: 1-line block ×4, first 2 shown]
	v_mov_b32_e32 v12, 0xfca7ab0c
	v_fma_f64 v[5:6], v[0:1], s[8:9], v[5:6]
	s_mov_b32 s9, 0x3c545cb7
	v_mov_b32_e32 v13, 0x3e928af3
	v_fma_f64 v[7:8], v[0:1], v[5:6], s[8:9]
	s_mov_b32 s8, 0x721ebbb4
	s_mov_b32 s9, 0xbcb184eb
	v_add_f64 v[7:8], v[7:8], s[8:9]
	s_mov_b32 s8, 0x93f65eba
	s_mov_b32 s9, 0x3cdee6d8
	v_fma_f64 v[5:6], v[0:1], v[7:8], -v[5:6]
	v_add_f64 v[5:6], v[5:6], s[8:9]
	s_mov_b32 s8, 0xc297fbeb
	s_mov_b32 s9, 0xbd0a5022
	v_fma_f64 v[7:8], v[0:1], v[5:6], -v[7:8]
	;; [unrolled: 4-line block ×20, first 2 shown]
	v_add_f64 v[7:8], v[7:8], s[8:9]
	s_mov_b32 s8, 0x652b82fe
	s_mov_b32 s9, 0x3ff71547
	v_mul_f64 v[9:10], |v[3:4]|, s[8:9]
	s_mov_b32 s8, 0xf3dde3dd
	s_mov_b32 s9, 0x3f859961
	v_fma_f64 v[5:6], v[0:1], v[7:8], -v[5:6]
	v_rndne_f64_e32 v[9:10], v[9:10]
	v_add_f64 v[5:6], v[5:6], s[8:9]
	s_mov_b32 s8, 0xfefa39ef
	s_mov_b32 s9, 0xbfe62e42
	v_fma_f64 v[3:4], v[9:10], s[8:9], |v[3:4]|
	s_mov_b32 s8, 0xf121b6f0
	s_mov_b32 s9, 0xbf984e9e
	v_fma_f64 v[7:8], v[0:1], v[5:6], -v[7:8]
	v_fma_f64 v[3:4], v[9:10], s[10:11], v[3:4]
	s_mov_b32 s10, 0x623fde64
	s_mov_b32 s11, 0x3ec71dee
	v_add_f64 v[7:8], v[7:8], s[8:9]
	s_mov_b32 s8, 0x6a5dcb37
	s_mov_b32 s9, 0x3e5ade15
	v_fma_f64 v[12:13], v[3:4], s[8:9], v[12:13]
	s_mov_b32 s8, 0xcea8a32d
	s_mov_b32 s9, 0x3fa93e8a
	v_fma_f64 v[5:6], v[0:1], v[7:8], -v[5:6]
	v_fma_f64 v[12:13], v[3:4], v[12:13], s[10:11]
	s_mov_b32 s10, 0x14761f6e
	s_mov_b32 s11, 0x3f2a01a0
	v_add_f64 v[5:6], v[5:6], s[8:9]
	s_mov_b32 s8, 0x7c89e6b0
	s_mov_b32 s9, 0x3efa0199
	v_fma_f64 v[12:13], v[3:4], v[12:13], s[8:9]
	;; [unrolled: 10-line block ×4, first 2 shown]
	s_mov_b32 s8, 0xc057cd8d
	s_mov_b32 s9, 0xbfd37feb
	v_fma_f64 v[7:8], v[0:1], v[5:6], -v[7:8]
	v_fma_f64 v[12:13], v[3:4], v[12:13], s[10:11]
	v_add_f64 v[7:8], v[7:8], s[8:9]
	s_mov_b32 s8, 11
	s_mov_b32 s9, 0x3fe00000
	v_fma_f64 v[12:13], v[3:4], v[12:13], s[8:9]
	s_mov_b32 s8, 0x9035a22a
	s_mov_b32 s9, 0x3fe5a84e
	v_fma_f64 v[0:1], v[0:1], v[7:8], -v[5:6]
	v_fma_f64 v[7:8], v[3:4], v[12:13], 1.0
	v_add_f64 v[0:1], v[0:1], s[8:9]
	v_fma_f64 v[3:4], v[3:4], v[7:8], 1.0
	v_add_f64 v[0:1], v[0:1], -v[5:6]
	v_cvt_i32_f64_e32 v5, v[9:10]
	v_ldexp_f64 v[3:4], v[3:4], v5
	v_mul_f64 v[0:1], v[0:1], 0.5
	v_mul_f64 v[0:1], v[3:4], v[0:1]
                                        ; implicit-def: $vgpr3_vgpr4
.LBB9_701:
	s_andn2_saveexec_b64 s[8:9], s[0:1]
	s_cbranch_execz .LBB9_703
; %bb.702:
	s_mov_b32 s0, 0
	v_and_b32_e32 v1, 0x7fffffff, v4
	v_mov_b32_e32 v0, v3
	s_mov_b32 s1, 0x40400000
	v_div_scale_f64 v[5:6], s[10:11], v[0:1], v[0:1], s[0:1]
	v_div_scale_f64 v[0:1], vcc, s[0:1], v[0:1], s[0:1]
	s_mov_b32 s10, 0x3b39803f
	s_mov_b32 s11, 0xbc7abc9e
	v_mov_b32_e32 v14, 0xfca7ab0c
	v_mov_b32_e32 v15, 0x3e928af3
	s_mov_b32 s12, 0
	s_brev_b32 s13, 8
	v_mov_b32_e32 v16, 0x100
	v_rcp_f64_e32 v[7:8], v[5:6]
	v_fma_f64 v[9:10], -v[5:6], v[7:8], 1.0
	v_fma_f64 v[7:8], v[7:8], v[9:10], v[7:8]
	v_fma_f64 v[9:10], -v[5:6], v[7:8], 1.0
	v_fma_f64 v[7:8], v[7:8], v[9:10], v[7:8]
	v_mul_f64 v[9:10], v[0:1], v[7:8]
	v_fma_f64 v[0:1], -v[5:6], v[9:10], v[0:1]
	v_mov_b32_e32 v5, 0x66119130
	v_mov_b32_e32 v6, 0xbc5646da
	v_div_fmas_f64 v[0:1], v[0:1], v[7:8], v[9:10]
	v_cmp_lt_f64_e64 vcc, |v[3:4]|, s[12:13]
	v_cndmask_b32_e32 v16, 0, v16, vcc
	v_ldexp_f64 v[16:17], |v[3:4]|, v16
	v_div_fixup_f64 v[0:1], v[0:1], |v[3:4]|, s[0:1]
	s_mov_b32 s1, 0xbc60adb7
	s_mov_b32 s0, 0x54ca8b19
	v_rsq_f64_e32 v[18:19], v[16:17]
	v_add_f64 v[0:1], v[0:1], -2.0
	v_fma_f64 v[5:6], v[0:1], s[0:1], v[5:6]
	s_mov_b32 s1, 0x3c60adb7
	v_mul_f64 v[20:21], v[16:17], v[18:19]
	v_mul_f64 v[18:19], v[18:19], 0.5
	v_fma_f64 v[7:8], v[0:1], v[5:6], s[0:1]
	s_mov_b32 s0, 0x12d98421
	s_mov_b32 s1, 0x3c89be18
	v_fma_f64 v[22:23], -v[18:19], v[20:21], 0.5
	v_add_f64 v[7:8], v[7:8], s[0:1]
	s_mov_b32 s0, 0x76041cd
	s_mov_b32 s1, 0x3c83f3dd
	v_fma_f64 v[20:21], v[20:21], v[22:23], v[20:21]
	v_fma_f64 v[18:19], v[18:19], v[22:23], v[18:19]
	v_fma_f64 v[5:6], v[0:1], v[7:8], -v[5:6]
	v_fma_f64 v[22:23], -v[20:21], v[20:21], v[16:17]
	v_add_f64 v[5:6], v[5:6], s[0:1]
	s_mov_b32 s0, 0xabd21fe4
	s_mov_b32 s1, 0xbcb4600b
	v_fma_f64 v[7:8], v[0:1], v[5:6], -v[7:8]
	v_add_f64 v[7:8], v[7:8], s[0:1]
	s_mov_b32 s0, 0xd908de38
	s_mov_b32 s1, 0xbcb8aee7
	v_fma_f64 v[5:6], v[0:1], v[7:8], -v[5:6]
	;; [unrolled: 4-line block ×14, first 2 shown]
	v_add_f64 v[9:10], v[5:6], s[0:1]
	s_mov_b32 s0, 0x652b82fe
	s_mov_b32 s1, 0x3ff71547
	v_mul_f64 v[5:6], |v[3:4]|, s[0:1]
	s_mov_b32 s0, 0xa9225b87
	s_mov_b32 s1, 0x3e2d2c64
	v_fma_f64 v[7:8], v[0:1], v[9:10], -v[7:8]
	v_rndne_f64_e32 v[5:6], v[5:6]
	v_add_f64 v[12:13], v[7:8], s[0:1]
	s_mov_b32 s0, 0xfefa39ef
	s_mov_b32 s1, 0xbfe62e42
	v_fma_f64 v[7:8], v[5:6], s[0:1], |v[3:4]|
	s_mov_b32 s0, 0x80d6d56d
	s_mov_b32 s1, 0x3e585692
	v_fma_f64 v[9:10], v[0:1], v[12:13], -v[9:10]
	v_fma_f64 v[7:8], v[5:6], s[10:11], v[7:8]
	s_mov_b32 s10, 0x623fde64
	s_mov_b32 s11, 0x3ec71dee
	v_add_f64 v[9:10], v[9:10], s[0:1]
	s_mov_b32 s0, 0x6a5dcb37
	s_mov_b32 s1, 0x3e5ade15
	v_fma_f64 v[14:15], v[7:8], s[0:1], v[14:15]
	s_mov_b32 s0, 0xd9cd616e
	s_mov_b32 s1, 0x3e8b8007
	v_fma_f64 v[12:13], v[0:1], v[9:10], -v[12:13]
	v_fma_f64 v[14:15], v[7:8], v[14:15], s[10:11]
	s_mov_b32 s10, 0x14761f6e
	s_mov_b32 s11, 0x3f2a01a0
	v_add_f64 v[12:13], v[12:13], s[0:1]
	s_mov_b32 s0, 0x7c89e6b0
	s_mov_b32 s1, 0x3efa0199
	v_fma_f64 v[14:15], v[7:8], v[14:15], s[0:1]
	s_mov_b32 s0, 0xc101c586
	s_mov_b32 s1, 0x3ec8412b
	v_fma_f64 v[9:10], v[0:1], v[12:13], -v[9:10]
	v_fma_f64 v[14:15], v[7:8], v[14:15], s[10:11]
	s_mov_b32 s10, 0x11122322
	s_mov_b32 s11, 0x3f811111
	v_add_f64 v[9:10], v[9:10], s[0:1]
	s_mov_b32 s0, 0x1852b7b0
	s_mov_b32 s1, 0x3f56c16c
	v_fma_f64 v[14:15], v[7:8], v[14:15], s[0:1]
	s_mov_b32 s0, 0x78999e52
	s_mov_b32 s1, 0x3f120fa3
	v_fma_f64 v[12:13], v[0:1], v[9:10], -v[12:13]
	v_fma_f64 v[14:15], v[7:8], v[14:15], s[10:11]
	s_mov_b32 s10, 0x55555511
	s_mov_b32 s11, 0x3fc55555
	v_add_f64 v[12:13], v[12:13], s[0:1]
	s_mov_b32 s0, 0x555502a1
	s_mov_b32 s1, 0x3fa55555
	v_fma_f64 v[14:15], v[7:8], v[14:15], s[0:1]
	s_mov_b32 s0, 0xa2e59049
	s_mov_b32 s1, 0x3f6b998c
	v_fma_f64 v[9:10], v[0:1], v[12:13], -v[9:10]
	v_fma_f64 v[14:15], v[7:8], v[14:15], s[10:11]
	v_add_f64 v[9:10], v[9:10], s[0:1]
	s_mov_b32 s0, 11
	s_mov_b32 s1, 0x3fe00000
	v_fma_f64 v[14:15], v[7:8], v[14:15], s[0:1]
	s_mov_b32 s0, 0xaca809cb
	s_mov_b32 s1, 0x3fe9be62
	v_fma_f64 v[0:1], v[0:1], v[9:10], -v[12:13]
	v_fma_f64 v[9:10], v[22:23], v[18:19], v[20:21]
	v_fma_f64 v[14:15], v[7:8], v[14:15], 1.0
	v_add_f64 v[0:1], v[0:1], s[0:1]
	v_fma_f64 v[20:21], -v[9:10], v[9:10], v[16:17]
	s_mov_b32 s0, 0
	v_fma_f64 v[7:8], v[7:8], v[14:15], 1.0
	s_mov_b32 s1, 0x40900000
	v_cmp_ngt_f64_e64 s[0:1], |v[3:4]|, s[0:1]
	v_mov_b32_e32 v3, 0xffffff80
	v_cndmask_b32_e32 v3, 0, v3, vcc
	v_add_f64 v[0:1], v[0:1], -v[12:13]
	v_cvt_i32_f64_e32 v12, v[5:6]
	v_fma_f64 v[5:6], v[20:21], v[18:19], v[9:10]
	v_mov_b32_e32 v9, 0x7ff00000
	v_mov_b32_e32 v10, 0x260
	v_ldexp_f64 v[7:8], v[7:8], v12
	v_cmp_class_f64_e32 vcc, v[16:17], v10
	v_mul_f64 v[0:1], v[0:1], 0.5
	v_ldexp_f64 v[3:4], v[5:6], v3
	v_cndmask_b32_e64 v6, v9, v8, s[0:1]
	v_cndmask_b32_e64 v5, 0, v7, s[0:1]
	v_mul_f64 v[0:1], v[5:6], v[0:1]
	v_cndmask_b32_e32 v4, v4, v17, vcc
	v_cndmask_b32_e32 v3, v3, v16, vcc
	v_div_scale_f64 v[5:6], s[0:1], v[3:4], v[3:4], v[0:1]
	v_div_scale_f64 v[12:13], vcc, v[0:1], v[3:4], v[0:1]
	v_rcp_f64_e32 v[7:8], v[5:6]
	v_fma_f64 v[9:10], -v[5:6], v[7:8], 1.0
	v_fma_f64 v[7:8], v[7:8], v[9:10], v[7:8]
	v_fma_f64 v[9:10], -v[5:6], v[7:8], 1.0
	v_fma_f64 v[7:8], v[7:8], v[9:10], v[7:8]
	v_mul_f64 v[9:10], v[12:13], v[7:8]
	v_fma_f64 v[5:6], -v[5:6], v[9:10], v[12:13]
	v_div_fmas_f64 v[5:6], v[5:6], v[7:8], v[9:10]
	v_div_fixup_f64 v[0:1], v[5:6], v[3:4], v[0:1]
.LBB9_703:
	s_or_b64 exec, exec, s[8:9]
	v_mov_b32_e32 v3, s25
	s_and_b32 s14, s73, 0xff
	v_add_co_u32_e32 v4, vcc, s24, v2
	s_cmp_lt_i32 s14, 11
	v_addc_co_u32_e32 v5, vcc, 0, v3, vcc
	s_cbranch_scc1 .LBB9_711
; %bb.704:
	s_and_b32 s15, 0xffff, s14
	s_cmp_gt_i32 s15, 25
	s_cbranch_scc0 .LBB9_712
; %bb.705:
	s_cmp_gt_i32 s15, 28
	s_cbranch_scc0 .LBB9_713
; %bb.706:
	;; [unrolled: 3-line block ×4, first 2 shown]
	s_mov_b64 s[10:11], 0
	s_mov_b64 s[0:1], -1
	s_cmp_eq_u32 s15, 46
	s_mov_b64 s[8:9], 0
	s_cbranch_scc0 .LBB9_716
; %bb.709:
	v_cvt_f32_f64_e32 v2, v[0:1]
	s_movk_i32 s0, 0x7fff
	v_mov_b32_e32 v3, 0x7fc0
	s_mov_b64 s[8:9], -1
	v_bfe_u32 v6, v2, 16, 1
	v_cmp_o_f32_e32 vcc, v2, v2
	v_add3_u32 v2, v2, v6, s0
	v_cndmask_b32_sdwa v2, v3, v2, vcc dst_sel:DWORD dst_unused:UNUSED_PAD src0_sel:DWORD src1_sel:WORD_1
	global_store_dword v[4:5], v2, off
	s_mov_b64 s[0:1], 0
	s_branch .LBB9_716
.LBB9_710:
	s_mov_b64 s[8:9], 0
	s_mov_b64 s[0:1], s[60:61]
	s_branch .LBB9_827
.LBB9_711:
	s_mov_b64 s[10:11], -1
	s_mov_b64 s[8:9], 0
	s_mov_b64 s[0:1], s[60:61]
	s_branch .LBB9_785
.LBB9_712:
	s_mov_b64 s[10:11], -1
	s_mov_b64 s[8:9], 0
	s_mov_b64 s[0:1], s[60:61]
	s_branch .LBB9_743
.LBB9_713:
	s_mov_b64 s[10:11], -1
	s_mov_b64 s[8:9], 0
	s_mov_b64 s[0:1], s[60:61]
	s_branch .LBB9_726
.LBB9_714:
	s_mov_b64 s[10:11], -1
	s_mov_b64 s[8:9], 0
	s_mov_b64 s[0:1], s[60:61]
	s_branch .LBB9_722
.LBB9_715:
	s_mov_b64 s[10:11], -1
	s_mov_b64 s[8:9], 0
	s_mov_b64 s[0:1], s[60:61]
.LBB9_716:
	s_and_b64 vcc, exec, s[10:11]
	s_cbranch_vccz .LBB9_721
; %bb.717:
	s_cmp_eq_u32 s15, 44
	s_mov_b64 s[0:1], -1
	s_cbranch_scc0 .LBB9_721
; %bb.718:
	v_cvt_f32_f64_e32 v2, v[0:1]
	s_movk_i32 s0, 0xff
	v_mov_b32_e32 v6, 0xff
	v_bfe_u32 v3, v2, 23, 8
	v_cmp_ne_u32_e32 vcc, s0, v3
	s_and_saveexec_b64 s[8:9], vcc
; %bb.719:
	s_mov_b32 s0, 0x3fffff
	v_lshrrev_b32_e32 v6, 23, v2
	v_and_b32_e32 v7, 0x400000, v2
	v_and_or_b32 v2, v2, s0, v3
	v_cmp_ne_u32_e32 vcc, 0, v7
	v_cmp_ne_u32_e64 s[0:1], 0, v2
	s_and_b64 s[0:1], vcc, s[0:1]
	v_cndmask_b32_e64 v2, 0, 1, s[0:1]
	v_add_u32_e32 v6, v6, v2
; %bb.720:
	s_or_b64 exec, exec, s[8:9]
	s_mov_b64 s[8:9], -1
	s_mov_b64 s[0:1], 0
	global_store_byte v[4:5], v6, off
.LBB9_721:
	s_mov_b64 s[10:11], 0
.LBB9_722:
	s_and_b64 vcc, exec, s[10:11]
	s_cbranch_vccz .LBB9_725
; %bb.723:
	s_cmp_eq_u32 s15, 29
	s_mov_b64 s[0:1], -1
	s_cbranch_scc0 .LBB9_725
; %bb.724:
	v_trunc_f64_e32 v[2:3], v[0:1]
	s_movk_i32 s0, 0xffe0
	s_mov_b64 s[8:9], -1
	s_mov_b64 s[10:11], 0
	v_ldexp_f64 v[6:7], v[2:3], s0
	s_mov_b32 s0, 0
	s_mov_b32 s1, 0xc1f00000
	v_floor_f64_e32 v[6:7], v[6:7]
	v_fma_f64 v[2:3], v[6:7], s[0:1], v[2:3]
	v_cvt_u32_f64_e32 v7, v[6:7]
	s_mov_b64 s[0:1], 0
	v_cvt_u32_f64_e32 v6, v[2:3]
	global_store_dwordx2 v[4:5], v[6:7], off
	s_branch .LBB9_726
.LBB9_725:
	s_mov_b64 s[10:11], 0
.LBB9_726:
	s_and_b64 vcc, exec, s[10:11]
	s_cbranch_vccz .LBB9_742
; %bb.727:
	s_cmp_lt_i32 s15, 27
	s_mov_b64 s[8:9], -1
	s_cbranch_scc1 .LBB9_733
; %bb.728:
	v_cvt_u32_f64_e32 v2, v[0:1]
	s_cmp_gt_i32 s15, 27
	s_cbranch_scc0 .LBB9_730
; %bb.729:
	s_mov_b64 s[8:9], 0
	global_store_dword v[4:5], v2, off
.LBB9_730:
	s_andn2_b64 vcc, exec, s[8:9]
	s_cbranch_vccnz .LBB9_732
; %bb.731:
	global_store_short v[4:5], v2, off
.LBB9_732:
	s_mov_b64 s[8:9], 0
.LBB9_733:
	s_andn2_b64 vcc, exec, s[8:9]
	s_cbranch_vccnz .LBB9_741
; %bb.734:
	v_cvt_f32_f64_e32 v2, v[0:1]
	s_mov_b32 s8, 0x43800000
	v_mov_b32_e32 v6, 0x80
	v_and_b32_e32 v3, 0x7fffffff, v2
	v_cmp_gt_u32_e32 vcc, s8, v3
	s_and_saveexec_b64 s[8:9], vcc
	s_cbranch_execz .LBB9_740
; %bb.735:
	s_mov_b32 s10, 0x3bffffff
	v_cmp_lt_u32_e32 vcc, s10, v3
	s_mov_b64 s[10:11], 0
                                        ; implicit-def: $vgpr3
	s_and_saveexec_b64 s[12:13], vcc
	s_xor_b64 s[12:13], exec, s[12:13]
	s_cbranch_execz .LBB9_857
; %bb.736:
	v_bfe_u32 v3, v2, 20, 1
	s_mov_b32 s16, 0x487ffff
	v_add3_u32 v3, v2, v3, s16
	s_mov_b64 s[10:11], exec
	v_lshrrev_b32_e32 v3, 20, v3
	s_andn2_saveexec_b64 s[12:13], s[12:13]
	s_cbranch_execnz .LBB9_858
.LBB9_737:
	s_or_b64 exec, exec, s[12:13]
	v_mov_b32_e32 v6, 0
	s_and_saveexec_b64 s[12:13], s[10:11]
.LBB9_738:
	v_lshrrev_b32_e32 v2, 24, v2
	s_movk_i32 s10, 0x80
	v_and_or_b32 v6, v2, s10, v3
.LBB9_739:
	s_or_b64 exec, exec, s[12:13]
.LBB9_740:
	s_or_b64 exec, exec, s[8:9]
	global_store_byte v[4:5], v6, off
.LBB9_741:
	s_mov_b64 s[8:9], -1
.LBB9_742:
	s_mov_b64 s[10:11], 0
.LBB9_743:
	s_and_b64 vcc, exec, s[10:11]
	s_cbranch_vccz .LBB9_784
; %bb.744:
	s_cmp_gt_i32 s15, 22
	s_mov_b64 s[10:11], -1
	s_cbranch_scc0 .LBB9_776
; %bb.745:
	s_cmp_lt_i32 s15, 24
	s_mov_b64 s[8:9], -1
	s_cbranch_scc1 .LBB9_765
; %bb.746:
	s_cmp_gt_i32 s15, 24
	s_cbranch_scc0 .LBB9_754
; %bb.747:
	v_cvt_f32_f64_e32 v2, v[0:1]
	s_mov_b32 s8, 0x47800000
	v_mov_b32_e32 v6, 0x80
	v_and_b32_e32 v3, 0x7fffffff, v2
	v_cmp_gt_u32_e32 vcc, s8, v3
	s_and_saveexec_b64 s[8:9], vcc
	s_cbranch_execz .LBB9_753
; %bb.748:
	s_mov_b32 s10, 0x37ffffff
	v_cmp_lt_u32_e32 vcc, s10, v3
	s_mov_b64 s[10:11], 0
                                        ; implicit-def: $vgpr3
	s_and_saveexec_b64 s[12:13], vcc
	s_xor_b64 s[12:13], exec, s[12:13]
	s_cbranch_execz .LBB9_860
; %bb.749:
	v_bfe_u32 v3, v2, 21, 1
	s_mov_b32 s16, 0x88fffff
	v_add3_u32 v3, v2, v3, s16
	s_mov_b64 s[10:11], exec
	v_lshrrev_b32_e32 v3, 21, v3
	s_andn2_saveexec_b64 s[12:13], s[12:13]
	s_cbranch_execnz .LBB9_861
.LBB9_750:
	s_or_b64 exec, exec, s[12:13]
	v_mov_b32_e32 v6, 0
	s_and_saveexec_b64 s[12:13], s[10:11]
.LBB9_751:
	v_lshrrev_b32_e32 v2, 24, v2
	s_movk_i32 s10, 0x80
	v_and_or_b32 v6, v2, s10, v3
.LBB9_752:
	s_or_b64 exec, exec, s[12:13]
.LBB9_753:
	s_or_b64 exec, exec, s[8:9]
	s_mov_b64 s[8:9], 0
	global_store_byte v[4:5], v6, off
.LBB9_754:
	s_and_b64 vcc, exec, s[8:9]
	s_cbranch_vccz .LBB9_764
; %bb.755:
	v_cvt_f32_f64_e32 v2, v[0:1]
	s_mov_b32 s8, 0x43f00000
                                        ; implicit-def: $vgpr3
	v_and_b32_e32 v6, 0x7fffffff, v2
	v_cmp_gt_u32_e32 vcc, s8, v6
	s_and_saveexec_b64 s[8:9], vcc
	s_xor_b64 s[8:9], exec, s[8:9]
	s_cbranch_execz .LBB9_761
; %bb.756:
	s_mov_b32 s10, 0x3c7fffff
	v_cmp_lt_u32_e32 vcc, s10, v6
                                        ; implicit-def: $vgpr3
	s_and_saveexec_b64 s[10:11], vcc
	s_xor_b64 s[10:11], exec, s[10:11]
; %bb.757:
	v_bfe_u32 v3, v2, 20, 1
	s_mov_b32 s12, 0x407ffff
	v_add3_u32 v3, v2, v3, s12
	v_lshrrev_b32_e32 v6, 20, v3
	v_and_b32_e32 v3, 0xff00000, v3
	s_mov_b32 s12, 0x7f00000
	v_mov_b32_e32 v7, 0x7e
	v_cmp_ne_u32_e32 vcc, s12, v3
	v_cndmask_b32_e32 v3, v7, v6, vcc
; %bb.758:
	s_andn2_saveexec_b64 s[10:11], s[10:11]
; %bb.759:
	s_mov_b32 s12, 0x46800000
	v_add_f32_e64 v3, |v2|, s12
; %bb.760:
	s_or_b64 exec, exec, s[10:11]
                                        ; implicit-def: $vgpr6
.LBB9_761:
	s_andn2_saveexec_b64 s[8:9], s[8:9]
; %bb.762:
	s_mov_b32 s10, 0x7f800000
	v_mov_b32_e32 v3, 0x7e
	v_mov_b32_e32 v7, 0x7f
	v_cmp_lt_u32_e32 vcc, s10, v6
	v_cndmask_b32_e32 v3, v3, v7, vcc
; %bb.763:
	s_or_b64 exec, exec, s[8:9]
	v_lshrrev_b32_e32 v2, 24, v2
	s_movk_i32 s8, 0x80
	v_and_or_b32 v2, v2, s8, v3
	global_store_byte v[4:5], v2, off
.LBB9_764:
	s_mov_b64 s[8:9], 0
.LBB9_765:
	s_andn2_b64 vcc, exec, s[8:9]
	s_cbranch_vccnz .LBB9_775
; %bb.766:
	v_cvt_f32_f64_e32 v2, v[0:1]
	s_mov_b32 s8, 0x47800000
                                        ; implicit-def: $vgpr3
	v_and_b32_e32 v6, 0x7fffffff, v2
	v_cmp_gt_u32_e32 vcc, s8, v6
	s_and_saveexec_b64 s[8:9], vcc
	s_xor_b64 s[8:9], exec, s[8:9]
	s_cbranch_execz .LBB9_772
; %bb.767:
	s_mov_b32 s10, 0x387fffff
	v_cmp_lt_u32_e32 vcc, s10, v6
                                        ; implicit-def: $vgpr3
	s_and_saveexec_b64 s[10:11], vcc
	s_xor_b64 s[10:11], exec, s[10:11]
; %bb.768:
	v_bfe_u32 v3, v2, 21, 1
	s_mov_b32 s12, 0x80fffff
	v_add3_u32 v3, v2, v3, s12
	v_lshrrev_b32_e32 v3, 21, v3
; %bb.769:
	s_andn2_saveexec_b64 s[10:11], s[10:11]
; %bb.770:
	s_mov_b32 s12, 0x43000000
	v_add_f32_e64 v3, |v2|, s12
; %bb.771:
	s_or_b64 exec, exec, s[10:11]
                                        ; implicit-def: $vgpr6
.LBB9_772:
	s_andn2_saveexec_b64 s[8:9], s[8:9]
; %bb.773:
	s_mov_b32 s10, 0x7f800000
	v_mov_b32_e32 v3, 0x7c
	v_mov_b32_e32 v7, 0x7f
	v_cmp_lt_u32_e32 vcc, s10, v6
	v_cndmask_b32_e32 v3, v3, v7, vcc
; %bb.774:
	s_or_b64 exec, exec, s[8:9]
	v_lshrrev_b32_e32 v2, 24, v2
	s_movk_i32 s8, 0x80
	v_and_or_b32 v2, v2, s8, v3
	global_store_byte v[4:5], v2, off
.LBB9_775:
	s_mov_b64 s[10:11], 0
	s_mov_b64 s[8:9], -1
.LBB9_776:
	s_andn2_b64 vcc, exec, s[10:11]
	s_cbranch_vccnz .LBB9_784
; %bb.777:
	s_cmp_gt_i32 s15, 14
	s_mov_b64 s[10:11], -1
	s_cbranch_scc0 .LBB9_781
; %bb.778:
	s_cmp_eq_u32 s15, 15
	s_mov_b64 s[0:1], -1
	s_cbranch_scc0 .LBB9_780
; %bb.779:
	v_cvt_f32_f64_e32 v2, v[0:1]
	s_movk_i32 s0, 0x7fff
	v_mov_b32_e32 v3, 0x7fc0
	s_mov_b64 s[8:9], -1
	v_bfe_u32 v6, v2, 16, 1
	v_cmp_o_f32_e32 vcc, v2, v2
	v_add3_u32 v2, v2, v6, s0
	v_cndmask_b32_sdwa v2, v3, v2, vcc dst_sel:DWORD dst_unused:UNUSED_PAD src0_sel:DWORD src1_sel:WORD_1
	global_store_short v[4:5], v2, off
	s_mov_b64 s[0:1], 0
.LBB9_780:
	s_mov_b64 s[10:11], 0
.LBB9_781:
	s_and_b64 vcc, exec, s[10:11]
	s_cbranch_vccz .LBB9_784
; %bb.782:
	s_cmp_eq_u32 s15, 11
	s_mov_b64 s[0:1], -1
	s_cbranch_scc0 .LBB9_784
; %bb.783:
	v_cmp_neq_f64_e32 vcc, 0, v[0:1]
	s_mov_b64 s[0:1], 0
	s_mov_b64 s[8:9], -1
	v_cndmask_b32_e64 v2, 0, 1, vcc
	global_store_byte v[4:5], v2, off
.LBB9_784:
	s_mov_b64 s[10:11], 0
.LBB9_785:
	s_and_b64 vcc, exec, s[10:11]
	s_cbranch_vccz .LBB9_824
; %bb.786:
	s_and_b32 s10, 0xffff, s14
	s_cmp_lt_i32 s10, 5
	s_mov_b64 s[8:9], -1
	s_cbranch_scc1 .LBB9_807
; %bb.787:
	s_cmp_lt_i32 s10, 8
	s_cbranch_scc1 .LBB9_797
; %bb.788:
	s_cmp_lt_i32 s10, 9
	s_cbranch_scc1 .LBB9_794
; %bb.789:
	s_cmp_gt_i32 s10, 9
	s_cbranch_scc0 .LBB9_791
; %bb.790:
	v_mov_b32_e32 v2, 0
	v_mov_b32_e32 v3, v2
	s_mov_b64 s[8:9], 0
	global_store_dwordx4 v[4:5], v[0:3], off
.LBB9_791:
	s_andn2_b64 vcc, exec, s[8:9]
	s_cbranch_vccnz .LBB9_793
; %bb.792:
	v_cvt_f32_f64_e32 v2, v[0:1]
	v_mov_b32_e32 v3, 0
	global_store_dwordx2 v[4:5], v[2:3], off
.LBB9_793:
	s_mov_b64 s[8:9], 0
.LBB9_794:
	s_andn2_b64 vcc, exec, s[8:9]
	s_cbranch_vccnz .LBB9_796
; %bb.795:
	s_movk_i32 s8, 0x1ff
	v_and_or_b32 v2, v1, s8, v0
	v_cmp_ne_u32_e32 vcc, 0, v2
	v_cndmask_b32_e64 v2, 0, 1, vcc
	v_lshrrev_b32_e32 v3, 8, v1
	s_movk_i32 s8, 0xffe
	v_bfe_u32 v6, v1, 20, 11
	v_and_or_b32 v2, v3, s8, v2
	v_sub_u32_e32 v7, 0x3f1, v6
	v_or_b32_e32 v3, 0x1000, v2
	v_med3_i32 v7, v7, 0, 13
	v_lshrrev_b32_e32 v8, v7, v3
	v_lshlrev_b32_e32 v7, v7, v8
	v_cmp_ne_u32_e32 vcc, v7, v3
	v_cndmask_b32_e64 v3, 0, 1, vcc
	v_add_u32_e32 v6, 0xfffffc10, v6
	v_or_b32_e32 v3, v8, v3
	v_lshl_or_b32 v7, v6, 12, v2
	v_cmp_gt_i32_e32 vcc, 1, v6
	v_cndmask_b32_e32 v3, v7, v3, vcc
	v_and_b32_e32 v7, 7, v3
	v_cmp_lt_i32_e32 vcc, 5, v7
	v_cndmask_b32_e64 v8, 0, 1, vcc
	v_cmp_eq_u32_e32 vcc, 3, v7
	v_cndmask_b32_e64 v7, 0, 1, vcc
	v_or_b32_e32 v7, v7, v8
	v_lshrrev_b32_e32 v3, 2, v3
	v_add_u32_e32 v3, v3, v7
	v_mov_b32_e32 v7, 0x7c00
	v_cmp_gt_i32_e32 vcc, 31, v6
	v_cndmask_b32_e32 v3, v7, v3, vcc
	v_mov_b32_e32 v8, 0x7e00
	v_cmp_ne_u32_e32 vcc, 0, v2
	s_movk_i32 s8, 0x40f
	v_cndmask_b32_e32 v2, v7, v8, vcc
	v_cmp_eq_u32_e32 vcc, s8, v6
	v_cndmask_b32_e32 v2, v3, v2, vcc
	v_lshrrev_b32_e32 v3, 16, v1
	s_mov_b32 s8, 0x8000
	v_and_or_b32 v2, v3, s8, v2
	v_and_b32_e32 v2, 0xffff, v2
	global_store_dword v[4:5], v2, off
.LBB9_796:
	s_mov_b64 s[8:9], 0
.LBB9_797:
	s_andn2_b64 vcc, exec, s[8:9]
	s_cbranch_vccnz .LBB9_806
; %bb.798:
	s_cmp_lt_i32 s10, 6
	s_mov_b64 s[8:9], -1
	s_cbranch_scc1 .LBB9_804
; %bb.799:
	s_cmp_gt_i32 s10, 6
	s_cbranch_scc0 .LBB9_801
; %bb.800:
	s_mov_b64 s[8:9], 0
	global_store_dwordx2 v[4:5], v[0:1], off
.LBB9_801:
	s_andn2_b64 vcc, exec, s[8:9]
	s_cbranch_vccnz .LBB9_803
; %bb.802:
	v_cvt_f32_f64_e32 v2, v[0:1]
	global_store_dword v[4:5], v2, off
.LBB9_803:
	s_mov_b64 s[8:9], 0
.LBB9_804:
	s_andn2_b64 vcc, exec, s[8:9]
	s_cbranch_vccnz .LBB9_806
; %bb.805:
	s_movk_i32 s8, 0x1ff
	v_and_or_b32 v2, v1, s8, v0
	v_cmp_ne_u32_e32 vcc, 0, v2
	v_cndmask_b32_e64 v2, 0, 1, vcc
	v_lshrrev_b32_e32 v3, 8, v1
	s_movk_i32 s8, 0xffe
	v_bfe_u32 v6, v1, 20, 11
	v_and_or_b32 v2, v3, s8, v2
	v_sub_u32_e32 v7, 0x3f1, v6
	v_or_b32_e32 v3, 0x1000, v2
	v_med3_i32 v7, v7, 0, 13
	v_lshrrev_b32_e32 v8, v7, v3
	v_lshlrev_b32_e32 v7, v7, v8
	v_cmp_ne_u32_e32 vcc, v7, v3
	v_cndmask_b32_e64 v3, 0, 1, vcc
	v_add_u32_e32 v6, 0xfffffc10, v6
	v_or_b32_e32 v3, v8, v3
	v_lshl_or_b32 v7, v6, 12, v2
	v_cmp_gt_i32_e32 vcc, 1, v6
	v_cndmask_b32_e32 v3, v7, v3, vcc
	v_and_b32_e32 v7, 7, v3
	v_cmp_lt_i32_e32 vcc, 5, v7
	v_cndmask_b32_e64 v8, 0, 1, vcc
	v_cmp_eq_u32_e32 vcc, 3, v7
	v_cndmask_b32_e64 v7, 0, 1, vcc
	v_or_b32_e32 v7, v7, v8
	v_lshrrev_b32_e32 v3, 2, v3
	v_add_u32_e32 v3, v3, v7
	v_mov_b32_e32 v7, 0x7c00
	v_cmp_gt_i32_e32 vcc, 31, v6
	v_cndmask_b32_e32 v3, v7, v3, vcc
	v_mov_b32_e32 v8, 0x7e00
	v_cmp_ne_u32_e32 vcc, 0, v2
	s_movk_i32 s8, 0x40f
	v_cndmask_b32_e32 v2, v7, v8, vcc
	v_cmp_eq_u32_e32 vcc, s8, v6
	v_cndmask_b32_e32 v2, v3, v2, vcc
	v_lshrrev_b32_e32 v3, 16, v1
	s_mov_b32 s8, 0x8000
	v_and_or_b32 v2, v3, s8, v2
	global_store_short v[4:5], v2, off
.LBB9_806:
	s_mov_b64 s[8:9], 0
.LBB9_807:
	s_andn2_b64 vcc, exec, s[8:9]
	s_cbranch_vccnz .LBB9_823
; %bb.808:
	s_cmp_lt_i32 s10, 2
	s_mov_b64 s[8:9], -1
	s_cbranch_scc1 .LBB9_818
; %bb.809:
	s_cmp_lt_i32 s10, 3
	s_cbranch_scc1 .LBB9_815
; %bb.810:
	s_cmp_gt_i32 s10, 3
	s_cbranch_scc0 .LBB9_812
; %bb.811:
	v_trunc_f64_e32 v[2:3], v[0:1]
	s_movk_i32 s8, 0xffe0
	v_ldexp_f64 v[6:7], v[2:3], s8
	s_mov_b32 s8, 0
	s_mov_b32 s9, 0xc1f00000
	v_floor_f64_e32 v[6:7], v[6:7]
	v_fma_f64 v[2:3], v[6:7], s[8:9], v[2:3]
	v_cvt_i32_f64_e32 v7, v[6:7]
	s_mov_b64 s[8:9], 0
	v_cvt_u32_f64_e32 v6, v[2:3]
	global_store_dwordx2 v[4:5], v[6:7], off
.LBB9_812:
	s_andn2_b64 vcc, exec, s[8:9]
	s_cbranch_vccnz .LBB9_814
; %bb.813:
	v_cvt_i32_f64_e32 v2, v[0:1]
	global_store_dword v[4:5], v2, off
.LBB9_814:
	s_mov_b64 s[8:9], 0
.LBB9_815:
	s_andn2_b64 vcc, exec, s[8:9]
	s_cbranch_vccnz .LBB9_817
; %bb.816:
	v_cvt_i32_f64_e32 v2, v[0:1]
	global_store_short v[4:5], v2, off
.LBB9_817:
	s_mov_b64 s[8:9], 0
.LBB9_818:
	s_andn2_b64 vcc, exec, s[8:9]
	s_cbranch_vccnz .LBB9_823
; %bb.819:
	s_cmp_gt_i32 s10, 0
	s_mov_b64 s[8:9], -1
	s_cbranch_scc0 .LBB9_821
; %bb.820:
	v_cvt_i32_f64_e32 v2, v[0:1]
	s_mov_b64 s[8:9], 0
	global_store_byte v[4:5], v2, off
.LBB9_821:
	s_andn2_b64 vcc, exec, s[8:9]
	s_cbranch_vccnz .LBB9_823
; %bb.822:
	v_trunc_f64_e32 v[0:1], v[0:1]
	s_movk_i32 s8, 0xffe0
	v_ldexp_f64 v[2:3], v[0:1], s8
	s_mov_b32 s8, 0
	s_mov_b32 s9, 0xc1f00000
	v_floor_f64_e32 v[2:3], v[2:3]
	v_fma_f64 v[0:1], v[2:3], s[8:9], v[0:1]
	v_cvt_u32_f64_e32 v0, v[0:1]
	global_store_byte v[4:5], v0, off
.LBB9_823:
	s_mov_b64 s[8:9], -1
.LBB9_824:
	s_andn2_b64 vcc, exec, s[8:9]
	s_cbranch_vccnz .LBB9_826
; %bb.825:
	v_add_u32_e32 v11, 0x80, v11
	s_mov_b64 s[8:9], -1
	s_branch .LBB9_828
.LBB9_826:
	s_mov_b64 s[8:9], 0
.LBB9_827:
                                        ; implicit-def: $vgpr11
.LBB9_828:
	s_andn2_b64 s[10:11], s[60:61], exec
	s_and_b64 s[0:1], s[0:1], exec
	s_or_b64 s[68:69], s[10:11], s[0:1]
	s_andn2_b64 s[0:1], s[58:59], exec
	s_and_b64 s[2:3], s[2:3], exec
	s_or_b64 s[66:67], s[0:1], s[2:3]
	s_orn2_b64 s[2:3], s[8:9], exec
.LBB9_829:
	s_or_b64 exec, exec, s[64:65]
	s_mov_b64 s[0:1], 0
	s_mov_b64 s[8:9], 0
	;; [unrolled: 1-line block ×3, first 2 shown]
                                        ; implicit-def: $vgpr0_vgpr1
                                        ; implicit-def: $vgpr2
                                        ; implicit-def: $vgpr3_vgpr4
	s_and_saveexec_b64 s[64:65], s[2:3]
	s_cbranch_execz .LBB9_928
; %bb.830:
	v_cmp_gt_i32_e32 vcc, s70, v11
	s_mov_b64 s[2:3], 0
	s_mov_b64 s[12:13], s[66:67]
                                        ; implicit-def: $vgpr0_vgpr1
                                        ; implicit-def: $vgpr2
                                        ; implicit-def: $vgpr3_vgpr4
	s_and_saveexec_b64 s[70:71], vcc
	s_cbranch_execz .LBB9_927
; %bb.831:
	s_andn2_b64 vcc, exec, s[40:41]
	s_cbranch_vccnz .LBB9_836
; %bb.832:
	s_andn2_b64 vcc, exec, s[50:51]
	s_cbranch_vccnz .LBB9_837
; %bb.833:
	s_add_i32 s76, s75, 1
	s_cmp_eq_u32 s72, 2
	s_cbranch_scc1 .LBB9_838
; %bb.834:
	s_and_b32 s75, s76, 28
	v_mov_b32_e32 v0, 0
	s_mov_b32 s77, 0
	s_mov_b64 s[50:51], s[34:35]
	v_mov_b32_e32 v2, 0
	v_mov_b32_e32 v1, v11
.LBB9_835:                              ; =>This Inner Loop Header: Depth=1
	s_load_dwordx8 s[16:23], s[50:51], 0x4
	s_load_dwordx4 s[0:3], s[50:51], 0x24
	s_load_dwordx8 s[8:15], s[48:49], 0x0
	s_add_u32 s50, s50, 48
	s_addc_u32 s51, s51, 0
	s_waitcnt vmcnt(0) lgkmcnt(0)
	v_mul_hi_u32 v3, s17, v1
	s_add_i32 s77, s77, 4
	s_add_u32 s48, s48, 32
	s_addc_u32 s49, s49, 0
	v_add_u32_e32 v3, v1, v3
	v_lshrrev_b32_e32 v3, s18, v3
	v_mul_lo_u32 v4, v3, s16
	v_mul_hi_u32 v5, s20, v3
	s_cmp_eq_u32 s75, s77
	v_sub_u32_e32 v1, v1, v4
	v_add_u32_e32 v4, v3, v5
	v_mul_lo_u32 v5, v1, s8
	v_mul_lo_u32 v6, v1, s9
	v_lshrrev_b32_e32 v1, s21, v4
	v_mul_lo_u32 v4, v1, s19
	v_mul_hi_u32 v7, s23, v1
	v_sub_u32_e32 v3, v3, v4
	v_add_u32_e32 v4, v1, v7
	v_lshrrev_b32_e32 v4, s0, v4
	v_mul_hi_u32 v8, s2, v4
	v_mul_lo_u32 v9, v4, s22
	v_mul_lo_u32 v7, v3, s10
	;; [unrolled: 1-line block ×3, first 2 shown]
	v_sub_u32_e32 v9, v1, v9
	v_add_u32_e32 v1, v4, v8
	v_lshrrev_b32_e32 v1, s3, v1
	v_mul_lo_u32 v8, v1, s1
	v_mul_lo_u32 v10, v9, s12
	;; [unrolled: 1-line block ×3, first 2 shown]
	v_add3_u32 v2, v5, v2, v7
	v_sub_u32_e32 v4, v4, v8
	v_mul_lo_u32 v8, v4, s14
	v_mul_lo_u32 v4, v4, s15
	v_add3_u32 v0, v6, v0, v3
	v_add3_u32 v2, v10, v2, v8
	;; [unrolled: 1-line block ×3, first 2 shown]
	s_cbranch_scc0 .LBB9_835
	s_branch .LBB9_839
.LBB9_836:
	s_mov_b64 s[0:1], -1
                                        ; implicit-def: $vgpr2
                                        ; implicit-def: $vgpr0
	s_branch .LBB9_843
.LBB9_837:
	v_mov_b32_e32 v2, 0
	v_mov_b32_e32 v0, 0
	s_branch .LBB9_842
.LBB9_838:
	s_mov_b32 s75, 0
	v_mov_b32_e32 v2, 0
	v_mov_b32_e32 v0, 0
	;; [unrolled: 1-line block ×3, first 2 shown]
.LBB9_839:
	s_and_b32 s8, s76, 3
	s_cmp_eq_u32 s8, 0
	s_cbranch_scc1 .LBB9_842
; %bb.840:
	s_lshl_b32 s0, s75, 3
	s_add_u32 s0, s34, s0
	s_addc_u32 s1, s35, 0
	s_add_u32 s0, s0, 0xc4
	s_addc_u32 s1, s1, 0
	s_mul_i32 s2, s75, 12
	s_add_u32 s2, s34, s2
	s_addc_u32 s3, s35, 0
.LBB9_841:                              ; =>This Inner Loop Header: Depth=1
	s_load_dwordx2 s[10:11], s[2:3], 0x4
	s_load_dword s9, s[2:3], 0xc
	s_load_dwordx2 s[12:13], s[0:1], 0x0
	s_add_u32 s2, s2, 12
	s_addc_u32 s3, s3, 0
	s_waitcnt vmcnt(0) lgkmcnt(0)
	v_mul_hi_u32 v3, s11, v1
	s_add_u32 s0, s0, 8
	s_addc_u32 s1, s1, 0
	s_add_i32 s8, s8, -1
	v_add_u32_e32 v3, v1, v3
	v_lshrrev_b32_e32 v4, s9, v3
	v_mul_lo_u32 v3, v4, s10
	s_cmp_lg_u32 s8, 0
	v_sub_u32_e32 v1, v1, v3
	v_mad_u64_u32 v[2:3], s[10:11], v1, s12, v[2:3]
	v_mad_u64_u32 v[0:1], s[10:11], v1, s13, v[0:1]
	v_mov_b32_e32 v1, v4
	s_cbranch_scc1 .LBB9_841
.LBB9_842:
	s_mov_b64 s[0:1], 0
.LBB9_843:
	s_andn2_b64 vcc, exec, s[0:1]
	s_cbranch_vccnz .LBB9_846
; %bb.844:
	s_waitcnt lgkmcnt(0)
	v_mul_hi_u32 v0, s37, v11
	s_andn2_b64 vcc, exec, s[46:47]
	v_add_u32_e32 v0, v11, v0
	v_lshrrev_b32_e32 v1, s38, v0
	v_mul_lo_u32 v0, v1, s36
	v_sub_u32_e32 v0, v11, v0
	v_mul_lo_u32 v2, v0, s28
	v_mul_lo_u32 v0, v0, s29
	s_cbranch_vccnz .LBB9_846
; %bb.845:
	s_waitcnt vmcnt(0)
	v_mul_hi_u32 v3, s44, v1
	v_add_u32_e32 v3, v1, v3
	v_lshrrev_b32_e32 v3, s45, v3
	v_mul_lo_u32 v3, v3, s39
	v_sub_u32_e32 v1, v1, v3
	v_mad_u64_u32 v[2:3], s[0:1], v1, s30, v[2:3]
	v_mad_u64_u32 v[0:1], s[0:1], v1, s31, v[0:1]
.LBB9_846:
	s_waitcnt lgkmcnt(0)
	v_mov_b32_e32 v1, s27
	s_and_b32 s14, 0xffff, s74
	v_add_co_u32_e32 v0, vcc, s26, v0
	s_cmp_lt_i32 s14, 11
	v_addc_co_u32_e32 v1, vcc, 0, v1, vcc
	s_cbranch_scc1 .LBB9_853
; %bb.847:
	s_cmp_gt_i32 s14, 25
	s_mov_b64 s[2:3], 0
	s_cbranch_scc0 .LBB9_854
; %bb.848:
	s_cmp_gt_i32 s14, 28
	s_cbranch_scc0 .LBB9_855
; %bb.849:
	s_cmp_gt_i32 s14, 43
	;; [unrolled: 3-line block ×3, first 2 shown]
	s_cbranch_scc0 .LBB9_859
; %bb.851:
	s_cmp_eq_u32 s14, 46
	s_mov_b64 s[10:11], 0
	s_cbranch_scc0 .LBB9_862
; %bb.852:
	global_load_dword v3, v[0:1], off
	s_mov_b64 s[0:1], 0
	s_mov_b64 s[8:9], -1
	s_waitcnt vmcnt(0)
	v_lshlrev_b32_e32 v3, 16, v3
	v_cvt_f64_f32_e32 v[3:4], v3
	s_branch .LBB9_863
.LBB9_853:
	s_mov_b64 s[12:13], -1
	s_mov_b64 s[8:9], 0
	s_mov_b64 s[2:3], 0
	;; [unrolled: 1-line block ×3, first 2 shown]
                                        ; implicit-def: $vgpr3_vgpr4
	s_branch .LBB9_926
.LBB9_854:
	s_mov_b64 s[10:11], -1
	s_mov_b64 s[8:9], 0
	s_mov_b64 s[0:1], s[66:67]
                                        ; implicit-def: $vgpr3_vgpr4
	s_branch .LBB9_894
.LBB9_855:
	s_mov_b64 s[10:11], -1
	s_mov_b64 s[8:9], 0
	s_mov_b64 s[0:1], s[66:67]
                                        ; implicit-def: $vgpr3_vgpr4
	s_branch .LBB9_873
.LBB9_856:
	s_mov_b64 s[10:11], -1
	s_mov_b64 s[8:9], 0
	s_mov_b64 s[0:1], s[66:67]
                                        ; implicit-def: $vgpr3_vgpr4
	s_branch .LBB9_868
.LBB9_857:
	s_andn2_saveexec_b64 s[12:13], s[12:13]
	s_cbranch_execz .LBB9_737
.LBB9_858:
	s_mov_b32 s16, 0x46000000
	v_add_f32_e64 v3, |v2|, s16
	v_and_b32_e32 v3, 0xff, v3
	v_cmp_ne_u32_e32 vcc, 0, v3
	s_andn2_b64 s[10:11], s[10:11], exec
	s_and_b64 s[16:17], vcc, exec
	s_or_b64 s[10:11], s[10:11], s[16:17]
	s_or_b64 exec, exec, s[12:13]
	v_mov_b32_e32 v6, 0
	s_and_saveexec_b64 s[12:13], s[10:11]
	s_cbranch_execnz .LBB9_738
	s_branch .LBB9_739
.LBB9_859:
	s_mov_b64 s[10:11], -1
	s_mov_b64 s[8:9], 0
	s_mov_b64 s[0:1], s[66:67]
                                        ; implicit-def: $vgpr3_vgpr4
	s_branch .LBB9_863
.LBB9_860:
	s_andn2_saveexec_b64 s[12:13], s[12:13]
	s_cbranch_execz .LBB9_750
.LBB9_861:
	s_mov_b32 s16, 0x42800000
	v_add_f32_e64 v3, |v2|, s16
	v_and_b32_e32 v3, 0xff, v3
	v_cmp_ne_u32_e32 vcc, 0, v3
	s_andn2_b64 s[10:11], s[10:11], exec
	s_and_b64 s[16:17], vcc, exec
	s_or_b64 s[10:11], s[10:11], s[16:17]
	s_or_b64 exec, exec, s[12:13]
	v_mov_b32_e32 v6, 0
	s_and_saveexec_b64 s[12:13], s[10:11]
	s_cbranch_execnz .LBB9_751
	s_branch .LBB9_752
.LBB9_862:
	s_mov_b64 s[0:1], -1
                                        ; implicit-def: $vgpr3_vgpr4
	s_mov_b64 s[8:9], 0
.LBB9_863:
	s_and_b64 vcc, exec, s[10:11]
	s_cbranch_vccz .LBB9_867
; %bb.864:
	s_cmp_eq_u32 s14, 44
	s_cbranch_scc0 .LBB9_866
; %bb.865:
	global_load_ubyte v5, v[0:1], off
	s_movk_i32 s8, 0xff
	v_bfrev_b32_e32 v6, 4
	v_mov_b32_e32 v7, 0x7ff80000
	v_bfrev_b32_e32 v8, 28
	s_mov_b64 s[0:1], 0
	s_waitcnt vmcnt(0)
	v_lshlrev_b32_e32 v3, 23, v5
	v_cvt_f64_f32_e32 v[3:4], v3
	v_cmp_ne_u32_e32 vcc, s8, v5
	s_mov_b64 s[8:9], -1
	v_cndmask_b32_e32 v3, v6, v3, vcc
	v_cndmask_b32_e32 v4, v7, v4, vcc
	v_cmp_ne_u32_e32 vcc, 0, v5
	v_cndmask_b32_e32 v4, v8, v4, vcc
	v_cndmask_b32_e32 v3, 0, v3, vcc
	s_branch .LBB9_867
.LBB9_866:
	s_mov_b64 s[0:1], -1
                                        ; implicit-def: $vgpr3_vgpr4
.LBB9_867:
	s_mov_b64 s[10:11], 0
.LBB9_868:
	s_and_b64 vcc, exec, s[10:11]
	s_cbranch_vccz .LBB9_872
; %bb.869:
	s_cmp_eq_u32 s14, 29
	s_cbranch_scc0 .LBB9_871
; %bb.870:
	global_load_dwordx2 v[3:4], v[0:1], off
	s_mov_b64 s[0:1], 0
	s_mov_b64 s[8:9], -1
	s_mov_b64 s[10:11], 0
	s_waitcnt vmcnt(0)
	v_cvt_f64_u32_e32 v[4:5], v4
	v_cvt_f64_u32_e32 v[6:7], v3
	v_ldexp_f64 v[4:5], v[4:5], 32
	v_add_f64 v[3:4], v[4:5], v[6:7]
	s_branch .LBB9_873
.LBB9_871:
	s_mov_b64 s[0:1], -1
                                        ; implicit-def: $vgpr3_vgpr4
.LBB9_872:
	s_mov_b64 s[10:11], 0
.LBB9_873:
	s_and_b64 vcc, exec, s[10:11]
	s_cbranch_vccz .LBB9_893
; %bb.874:
	s_cmp_lt_i32 s14, 27
	s_cbranch_scc1 .LBB9_877
; %bb.875:
	s_cmp_gt_i32 s14, 27
	s_cbranch_scc0 .LBB9_878
; %bb.876:
	global_load_dword v3, v[0:1], off
	s_mov_b64 s[8:9], 0
	s_waitcnt vmcnt(0)
	v_cvt_f64_u32_e32 v[3:4], v3
	s_branch .LBB9_879
.LBB9_877:
	s_mov_b64 s[8:9], -1
                                        ; implicit-def: $vgpr3_vgpr4
	s_branch .LBB9_882
.LBB9_878:
	s_mov_b64 s[8:9], -1
                                        ; implicit-def: $vgpr3_vgpr4
.LBB9_879:
	s_andn2_b64 vcc, exec, s[8:9]
	s_cbranch_vccnz .LBB9_881
; %bb.880:
	global_load_ushort v3, v[0:1], off
	s_waitcnt vmcnt(0)
	v_cvt_f64_u32_e32 v[3:4], v3
.LBB9_881:
	s_mov_b64 s[8:9], 0
.LBB9_882:
	s_andn2_b64 vcc, exec, s[8:9]
	s_cbranch_vccnz .LBB9_892
; %bb.883:
	global_load_ubyte v5, v[0:1], off
	s_movk_i32 s8, 0x7f
	s_waitcnt vmcnt(0)
	v_cmp_lt_i16_e32 vcc, s8, v5
	s_mov_b64 s[8:9], 0
	s_and_saveexec_b64 s[10:11], vcc
	s_xor_b64 s[10:11], exec, s[10:11]
	s_cbranch_execz .LBB9_887
; %bb.884:
	s_movk_i32 s8, 0x80
	v_cmp_eq_u16_e32 vcc, s8, v5
	s_mov_b64 s[8:9], -1
	s_and_saveexec_b64 s[12:13], vcc
; %bb.885:
	s_xor_b64 s[8:9], exec, -1
; %bb.886:
	s_or_b64 exec, exec, s[12:13]
	s_and_b64 s[8:9], s[8:9], exec
.LBB9_887:
	s_or_saveexec_b64 s[10:11], s[10:11]
	v_bfrev_b32_e32 v3, 4
	v_mov_b32_e32 v4, 0x7ff80000
	s_xor_b64 exec, exec, s[10:11]
; %bb.888:
	v_cmp_ne_u16_e32 vcc, 0, v5
	v_mov_b32_e32 v3, 0
	s_andn2_b64 s[8:9], s[8:9], exec
	s_and_b64 s[12:13], vcc, exec
	v_mov_b32_e32 v4, 0
	s_or_b64 s[8:9], s[8:9], s[12:13]
; %bb.889:
	s_or_b64 exec, exec, s[10:11]
	s_and_saveexec_b64 s[10:11], s[8:9]
	s_cbranch_execz .LBB9_891
; %bb.890:
	v_and_b32_e32 v4, 0xffff, v5
	v_lshlrev_b32_e32 v3, 24, v5
	v_and_b32_e32 v5, 7, v4
	v_ffbh_u32_e32 v7, v5
	v_min_u32_e32 v7, 32, v7
	v_subrev_u32_e32 v8, 28, v7
	v_bfe_u32 v6, v4, 3, 4
	v_lshlrev_b32_e32 v4, v8, v4
	v_sub_u32_e32 v7, 29, v7
	v_and_b32_e32 v4, 7, v4
	v_cmp_eq_u32_e32 vcc, 0, v6
	v_cndmask_b32_e32 v6, v6, v7, vcc
	v_cndmask_b32_e32 v4, v5, v4, vcc
	v_mov_b32_e32 v5, 0x3b800000
	v_lshlrev_b32_e32 v4, 20, v4
	v_and_b32_e32 v3, 0x80000000, v3
	v_lshl_add_u32 v5, v6, 23, v5
	v_or3_b32 v3, v3, v5, v4
	v_cvt_f64_f32_e32 v[3:4], v3
.LBB9_891:
	s_or_b64 exec, exec, s[10:11]
.LBB9_892:
	s_mov_b64 s[8:9], -1
.LBB9_893:
	s_mov_b64 s[10:11], 0
.LBB9_894:
	s_and_b64 vcc, exec, s[10:11]
	s_cbranch_vccz .LBB9_925
; %bb.895:
	s_cmp_gt_i32 s14, 22
	s_cbranch_scc0 .LBB9_907
; %bb.896:
	s_cmp_lt_i32 s14, 24
	s_cbranch_scc1 .LBB9_908
; %bb.897:
	s_cmp_gt_i32 s14, 24
	s_cbranch_scc0 .LBB9_909
; %bb.898:
	global_load_ubyte v5, v[0:1], off
	s_movk_i32 s2, 0x7f
	s_waitcnt vmcnt(0)
	v_cmp_lt_i16_e32 vcc, s2, v5
	s_mov_b64 s[2:3], 0
	s_and_saveexec_b64 s[8:9], vcc
	s_xor_b64 s[8:9], exec, s[8:9]
	s_cbranch_execz .LBB9_902
; %bb.899:
	s_movk_i32 s2, 0x80
	v_cmp_eq_u16_e32 vcc, s2, v5
	s_mov_b64 s[2:3], -1
	s_and_saveexec_b64 s[10:11], vcc
; %bb.900:
	s_xor_b64 s[2:3], exec, -1
; %bb.901:
	s_or_b64 exec, exec, s[10:11]
	s_and_b64 s[2:3], s[2:3], exec
.LBB9_902:
	s_or_saveexec_b64 s[8:9], s[8:9]
	v_bfrev_b32_e32 v3, 4
	v_mov_b32_e32 v4, 0x7ff80000
	s_xor_b64 exec, exec, s[8:9]
; %bb.903:
	v_cmp_ne_u16_e32 vcc, 0, v5
	v_mov_b32_e32 v3, 0
	s_andn2_b64 s[2:3], s[2:3], exec
	s_and_b64 s[10:11], vcc, exec
	v_mov_b32_e32 v4, 0
	s_or_b64 s[2:3], s[2:3], s[10:11]
; %bb.904:
	s_or_b64 exec, exec, s[8:9]
	s_and_saveexec_b64 s[8:9], s[2:3]
	s_cbranch_execz .LBB9_906
; %bb.905:
	v_and_b32_e32 v4, 0xffff, v5
	v_lshlrev_b32_e32 v3, 24, v5
	v_and_b32_e32 v5, 3, v4
	v_ffbh_u32_e32 v7, v5
	v_min_u32_e32 v7, 32, v7
	v_subrev_u32_e32 v8, 29, v7
	v_bfe_u32 v6, v4, 2, 5
	v_lshlrev_b32_e32 v4, v8, v4
	v_sub_u32_e32 v7, 30, v7
	v_and_b32_e32 v4, 3, v4
	v_cmp_eq_u32_e32 vcc, 0, v6
	v_cndmask_b32_e32 v6, v6, v7, vcc
	v_cndmask_b32_e32 v4, v5, v4, vcc
	v_mov_b32_e32 v5, 0x37800000
	v_lshlrev_b32_e32 v4, 21, v4
	v_and_b32_e32 v3, 0x80000000, v3
	v_lshl_add_u32 v5, v6, 23, v5
	v_or3_b32 v3, v3, v5, v4
	v_cvt_f64_f32_e32 v[3:4], v3
.LBB9_906:
	s_or_b64 exec, exec, s[8:9]
	s_mov_b64 s[2:3], 0
	s_branch .LBB9_910
.LBB9_907:
	s_mov_b64 s[2:3], -1
                                        ; implicit-def: $vgpr3_vgpr4
	s_branch .LBB9_916
.LBB9_908:
	s_mov_b64 s[2:3], -1
                                        ; implicit-def: $vgpr3_vgpr4
	s_branch .LBB9_913
.LBB9_909:
	s_mov_b64 s[2:3], -1
                                        ; implicit-def: $vgpr3_vgpr4
.LBB9_910:
	s_and_b64 vcc, exec, s[2:3]
	s_cbranch_vccz .LBB9_912
; %bb.911:
	global_load_ubyte v3, v[0:1], off
	s_mov_b32 s2, 0x7f800000
	s_waitcnt vmcnt(0)
	v_lshlrev_b32_e32 v3, 24, v3
	v_and_b32_e32 v4, 0x7f000000, v3
	v_ffbh_u32_e32 v5, v4
	v_min_u32_e32 v5, 32, v5
	v_sub_u32_e64 v5, v5, 4 clamp
	v_lshlrev_b32_e32 v7, v5, v4
	v_lshlrev_b32_e32 v5, 23, v5
	v_lshrrev_b32_e32 v7, 4, v7
	v_add_u32_e32 v6, 0x1000000, v4
	v_sub_u32_e32 v5, v7, v5
	v_ashrrev_i32_e32 v6, 8, v6
	v_add_u32_e32 v5, 0x3c000000, v5
	v_and_or_b32 v5, v6, s2, v5
	v_cmp_ne_u32_e32 vcc, 0, v4
	v_cndmask_b32_e32 v4, 0, v5, vcc
	s_brev_b32 s2, 1
	v_and_or_b32 v3, v3, s2, v4
	v_cvt_f64_f32_e32 v[3:4], v3
.LBB9_912:
	s_mov_b64 s[2:3], 0
.LBB9_913:
	s_andn2_b64 vcc, exec, s[2:3]
	s_cbranch_vccnz .LBB9_915
; %bb.914:
	global_load_ubyte v3, v[0:1], off
	s_movk_i32 s2, 0x7f00
	s_brev_b32 s3, 16
	s_waitcnt vmcnt(0)
	v_lshlrev_b16_e32 v4, 8, v3
	v_lshlrev_b32_e32 v3, 25, v3
	v_lshrrev_b32_e32 v5, 4, v3
	v_and_or_b32 v6, v4, s2, 0.5
	v_or_b32_e32 v5, 0x70000000, v5
	v_add_f32_e32 v6, -0.5, v6
	v_mul_f32_e32 v5, 0x7800000, v5
	v_cmp_gt_u32_e32 vcc, s3, v3
	v_bfe_i32 v4, v4, 0, 16
	v_cndmask_b32_e32 v3, v5, v6, vcc
	s_brev_b32 s2, 1
	v_and_or_b32 v3, v4, s2, v3
	v_cvt_f64_f32_e32 v[3:4], v3
.LBB9_915:
	s_mov_b64 s[2:3], 0
	s_mov_b64 s[8:9], -1
.LBB9_916:
	s_andn2_b64 vcc, exec, s[2:3]
	s_mov_b64 s[2:3], 0
	s_cbranch_vccnz .LBB9_925
; %bb.917:
	s_cmp_gt_i32 s14, 14
	s_cbranch_scc0 .LBB9_920
; %bb.918:
	s_cmp_eq_u32 s14, 15
	s_cbranch_scc0 .LBB9_921
; %bb.919:
	global_load_ushort v3, v[0:1], off
	s_mov_b64 s[0:1], 0
	s_mov_b64 s[8:9], -1
	s_waitcnt vmcnt(0)
	v_lshlrev_b32_e32 v3, 16, v3
	v_cvt_f64_f32_e32 v[3:4], v3
	s_branch .LBB9_922
.LBB9_920:
	s_mov_b64 s[10:11], -1
                                        ; implicit-def: $vgpr3_vgpr4
	s_branch .LBB9_923
.LBB9_921:
	s_mov_b64 s[0:1], -1
                                        ; implicit-def: $vgpr3_vgpr4
.LBB9_922:
	s_mov_b64 s[10:11], 0
.LBB9_923:
	s_and_b64 vcc, exec, s[10:11]
	s_cbranch_vccz .LBB9_925
; %bb.924:
	s_cmp_lg_u32 s14, 11
	s_cselect_b64 s[10:11], -1, 0
	s_andn2_b64 s[0:1], s[0:1], exec
	s_and_b64 s[10:11], s[10:11], exec
	s_mov_b64 s[2:3], -1
	s_or_b64 s[0:1], s[0:1], s[10:11]
.LBB9_925:
	s_mov_b64 s[12:13], 0
.LBB9_926:
	s_and_b64 s[10:11], s[8:9], exec
	s_and_b64 s[8:9], s[12:13], exec
	s_andn2_b64 s[12:13], s[66:67], exec
	s_and_b64 s[0:1], s[0:1], exec
	s_and_b64 s[2:3], s[2:3], exec
	s_or_b64 s[12:13], s[12:13], s[0:1]
.LBB9_927:
	s_or_b64 exec, exec, s[70:71]
	s_and_b64 s[0:1], s[2:3], exec
	s_andn2_b64 s[2:3], s[66:67], exec
	s_and_b64 s[12:13], s[12:13], exec
	s_and_b64 s[10:11], s[10:11], exec
	;; [unrolled: 1-line block ×3, first 2 shown]
	s_or_b64 s[66:67], s[2:3], s[12:13]
.LBB9_928:
	s_or_b64 exec, exec, s[64:65]
	s_andn2_b64 s[2:3], s[60:61], exec
	s_and_b64 s[12:13], s[68:69], exec
	s_or_b64 s[60:61], s[2:3], s[12:13]
	s_and_b64 s[2:3], s[0:1], exec
	s_andn2_b64 s[0:1], s[58:59], exec
	s_and_b64 s[12:13], s[66:67], exec
	s_and_b64 s[10:11], s[10:11], exec
	;; [unrolled: 1-line block ×3, first 2 shown]
	s_or_b64 s[58:59], s[0:1], s[12:13]
.LBB9_929:
	s_or_b64 exec, exec, s[62:63]
	s_andn2_b64 s[0:1], s[52:53], exec
	s_and_b64 s[12:13], s[60:61], exec
	s_or_b64 s[52:53], s[0:1], s[12:13]
	s_and_b64 s[0:1], s[10:11], exec
	s_and_b64 s[10:11], s[8:9], exec
	;; [unrolled: 1-line block ×3, first 2 shown]
	s_andn2_b64 s[2:3], s[54:55], exec
	s_and_b64 s[8:9], s[58:59], exec
	s_or_b64 s[54:55], s[2:3], s[8:9]
	s_or_b64 exec, exec, s[56:57]
	s_mov_b64 s[2:3], 0
	s_and_saveexec_b64 s[8:9], s[54:55]
	s_cbranch_execz .LBB9_278
.LBB9_930:
	s_mov_b64 s[2:3], exec
	s_andn2_b64 s[60:61], s[60:61], exec
	s_trap 2
	s_or_b64 exec, exec, s[8:9]
	s_and_saveexec_b64 s[8:9], s[60:61]
	s_xor_b64 s[8:9], exec, s[8:9]
	s_cbranch_execnz .LBB9_279
.LBB9_931:
	s_or_b64 exec, exec, s[8:9]
	s_and_saveexec_b64 s[8:9], s[10:11]
	s_cbranch_execz .LBB9_977
.LBB9_932:
	s_sext_i32_i16 s10, s74
	s_cmp_lt_i32 s10, 5
	s_cbranch_scc1 .LBB9_937
; %bb.933:
	s_cmp_lt_i32 s10, 8
	s_cbranch_scc1 .LBB9_938
; %bb.934:
	;; [unrolled: 3-line block ×3, first 2 shown]
	s_cmp_gt_i32 s10, 9
	s_cbranch_scc0 .LBB9_940
; %bb.936:
	global_load_dwordx2 v[3:4], v[0:1], off
	s_mov_b64 s[10:11], 0
	s_branch .LBB9_941
.LBB9_937:
                                        ; implicit-def: $vgpr3_vgpr4
	s_branch .LBB9_958
.LBB9_938:
                                        ; implicit-def: $vgpr3_vgpr4
	s_branch .LBB9_947
.LBB9_939:
	s_mov_b64 s[10:11], -1
                                        ; implicit-def: $vgpr3_vgpr4
	s_branch .LBB9_944
.LBB9_940:
	s_mov_b64 s[10:11], -1
                                        ; implicit-def: $vgpr3_vgpr4
.LBB9_941:
	s_andn2_b64 vcc, exec, s[10:11]
	s_cbranch_vccnz .LBB9_943
; %bb.942:
	global_load_dword v3, v[0:1], off
	s_waitcnt vmcnt(0)
	v_cvt_f64_f32_e32 v[3:4], v3
.LBB9_943:
	s_mov_b64 s[10:11], 0
.LBB9_944:
	s_andn2_b64 vcc, exec, s[10:11]
	s_cbranch_vccnz .LBB9_946
; %bb.945:
	global_load_dword v3, v[0:1], off
	s_waitcnt vmcnt(0)
	v_cvt_f32_f16_e32 v3, v3
	v_cvt_f64_f32_e32 v[3:4], v3
.LBB9_946:
	s_cbranch_execnz .LBB9_957
.LBB9_947:
	s_sext_i32_i16 s10, s74
	s_cmp_lt_i32 s10, 6
	s_cbranch_scc1 .LBB9_950
; %bb.948:
	s_cmp_gt_i32 s10, 6
	s_cbranch_scc0 .LBB9_951
; %bb.949:
	global_load_dwordx2 v[3:4], v[0:1], off
	s_mov_b64 s[10:11], 0
	s_branch .LBB9_952
.LBB9_950:
	s_mov_b64 s[10:11], -1
                                        ; implicit-def: $vgpr3_vgpr4
	s_branch .LBB9_955
.LBB9_951:
	s_mov_b64 s[10:11], -1
                                        ; implicit-def: $vgpr3_vgpr4
.LBB9_952:
	s_andn2_b64 vcc, exec, s[10:11]
	s_cbranch_vccnz .LBB9_954
; %bb.953:
	global_load_dword v3, v[0:1], off
	s_waitcnt vmcnt(0)
	v_cvt_f64_f32_e32 v[3:4], v3
.LBB9_954:
	s_mov_b64 s[10:11], 0
.LBB9_955:
	s_andn2_b64 vcc, exec, s[10:11]
	s_cbranch_vccnz .LBB9_957
; %bb.956:
	global_load_ushort v3, v[0:1], off
	s_waitcnt vmcnt(0)
	v_cvt_f32_f16_e32 v3, v3
	v_cvt_f64_f32_e32 v[3:4], v3
.LBB9_957:
	s_cbranch_execnz .LBB9_976
.LBB9_958:
	s_sext_i32_i16 s10, s74
	s_cmp_lt_i32 s10, 2
	s_cbranch_scc1 .LBB9_962
; %bb.959:
	s_cmp_lt_i32 s10, 3
	s_cbranch_scc1 .LBB9_963
; %bb.960:
	s_cmp_gt_i32 s10, 3
	s_cbranch_scc0 .LBB9_964
; %bb.961:
	global_load_dwordx2 v[3:4], v[0:1], off
	s_mov_b64 s[10:11], 0
	s_waitcnt vmcnt(0)
	v_cvt_f64_i32_e32 v[4:5], v4
	v_cvt_f64_u32_e32 v[6:7], v3
	v_ldexp_f64 v[4:5], v[4:5], 32
	v_add_f64 v[3:4], v[4:5], v[6:7]
	s_branch .LBB9_965
.LBB9_962:
                                        ; implicit-def: $vgpr3_vgpr4
	s_branch .LBB9_971
.LBB9_963:
	s_mov_b64 s[10:11], -1
                                        ; implicit-def: $vgpr3_vgpr4
	s_branch .LBB9_968
.LBB9_964:
	s_mov_b64 s[10:11], -1
                                        ; implicit-def: $vgpr3_vgpr4
.LBB9_965:
	s_andn2_b64 vcc, exec, s[10:11]
	s_cbranch_vccnz .LBB9_967
; %bb.966:
	global_load_dword v3, v[0:1], off
	s_waitcnt vmcnt(0)
	v_cvt_f64_i32_e32 v[3:4], v3
.LBB9_967:
	s_mov_b64 s[10:11], 0
.LBB9_968:
	s_andn2_b64 vcc, exec, s[10:11]
	s_cbranch_vccnz .LBB9_970
; %bb.969:
	global_load_sshort v3, v[0:1], off
	s_waitcnt vmcnt(0)
	v_cvt_f64_i32_e32 v[3:4], v3
.LBB9_970:
	s_cbranch_execnz .LBB9_976
.LBB9_971:
	s_sext_i32_i16 s10, s74
	s_cmp_gt_i32 s10, 0
	s_cbranch_scc0 .LBB9_973
; %bb.972:
	global_load_sbyte v3, v[0:1], off
	s_mov_b64 s[10:11], 0
	s_waitcnt vmcnt(0)
	v_cvt_f64_i32_e32 v[3:4], v3
	s_branch .LBB9_974
.LBB9_973:
	s_mov_b64 s[10:11], -1
                                        ; implicit-def: $vgpr3_vgpr4
.LBB9_974:
	s_andn2_b64 vcc, exec, s[10:11]
	s_cbranch_vccnz .LBB9_976
; %bb.975:
	global_load_ubyte v0, v[0:1], off
	s_waitcnt vmcnt(0)
	v_cvt_f64_u32_e32 v[3:4], v0
.LBB9_976:
	s_or_b64 s[0:1], s[0:1], exec
.LBB9_977:
	s_or_b64 exec, exec, s[8:9]
	s_mov_b64 s[12:13], 0
	s_mov_b64 s[10:11], 0
                                        ; implicit-def: $sgpr18
                                        ; implicit-def: $vgpr5_vgpr6
                                        ; implicit-def: $vgpr0_vgpr1
	s_and_saveexec_b64 s[8:9], s[0:1]
	s_cbranch_execz .LBB9_989
; %bb.978:
	s_mov_b32 s0, 0
	s_mov_b32 s1, 0x40200000
	s_waitcnt vmcnt(0)
	v_cmp_le_f64_e64 s[0:1], |v[3:4]|, s[0:1]
                                        ; implicit-def: $vgpr0_vgpr1
	s_and_saveexec_b64 s[10:11], s[0:1]
	s_xor_b64 s[0:1], exec, s[10:11]
	s_cbranch_execz .LBB9_980
; %bb.979:
	v_fma_f64 v[0:1], |v[3:4]|, 0.5, -2.0
	v_mov_b32_e32 v5, 0x977da589
	v_mov_b32_e32 v6, 0x3c833362
	s_mov_b32 s11, 0xbc545cb7
	s_mov_b32 s10, 0x2134d0ef
	;; [unrolled: 1-line block ×4, first 2 shown]
	v_mov_b32_e32 v11, 0xfca7ab0c
	v_fma_f64 v[5:6], v[0:1], s[10:11], v[5:6]
	s_mov_b32 s11, 0x3c545cb7
	v_mov_b32_e32 v12, 0x3e928af3
	v_fma_f64 v[7:8], v[0:1], v[5:6], s[10:11]
	s_mov_b32 s10, 0x721ebbb4
	s_mov_b32 s11, 0xbcb184eb
	v_add_f64 v[7:8], v[7:8], s[10:11]
	s_mov_b32 s10, 0x93f65eba
	s_mov_b32 s11, 0x3cdee6d8
	v_fma_f64 v[5:6], v[0:1], v[7:8], -v[5:6]
	v_add_f64 v[5:6], v[5:6], s[10:11]
	s_mov_b32 s10, 0xc297fbeb
	s_mov_b32 s11, 0xbd0a5022
	v_fma_f64 v[7:8], v[0:1], v[5:6], -v[7:8]
	;; [unrolled: 4-line block ×20, first 2 shown]
	v_add_f64 v[7:8], v[7:8], s[10:11]
	s_mov_b32 s10, 0x652b82fe
	s_mov_b32 s11, 0x3ff71547
	v_mul_f64 v[9:10], |v[3:4]|, s[10:11]
	s_mov_b32 s10, 0xf3dde3dd
	s_mov_b32 s11, 0x3f859961
	v_fma_f64 v[5:6], v[0:1], v[7:8], -v[5:6]
	v_rndne_f64_e32 v[9:10], v[9:10]
	v_add_f64 v[5:6], v[5:6], s[10:11]
	s_mov_b32 s10, 0xfefa39ef
	s_mov_b32 s11, 0xbfe62e42
	v_fma_f64 v[3:4], v[9:10], s[10:11], |v[3:4]|
	s_mov_b32 s10, 0xf121b6f0
	s_mov_b32 s11, 0xbf984e9e
	v_fma_f64 v[7:8], v[0:1], v[5:6], -v[7:8]
	v_fma_f64 v[3:4], v[9:10], s[12:13], v[3:4]
	s_mov_b32 s12, 0x623fde64
	s_mov_b32 s13, 0x3ec71dee
	v_add_f64 v[7:8], v[7:8], s[10:11]
	s_mov_b32 s10, 0x6a5dcb37
	s_mov_b32 s11, 0x3e5ade15
	v_fma_f64 v[11:12], v[3:4], s[10:11], v[11:12]
	s_mov_b32 s10, 0xcea8a32d
	s_mov_b32 s11, 0x3fa93e8a
	v_fma_f64 v[5:6], v[0:1], v[7:8], -v[5:6]
	v_fma_f64 v[11:12], v[3:4], v[11:12], s[12:13]
	s_mov_b32 s12, 0x14761f6e
	s_mov_b32 s13, 0x3f2a01a0
	v_add_f64 v[5:6], v[5:6], s[10:11]
	s_mov_b32 s10, 0x7c89e6b0
	s_mov_b32 s11, 0x3efa0199
	v_fma_f64 v[11:12], v[3:4], v[11:12], s[10:11]
	;; [unrolled: 10-line block ×4, first 2 shown]
	s_mov_b32 s10, 0xc057cd8d
	s_mov_b32 s11, 0xbfd37feb
	v_fma_f64 v[7:8], v[0:1], v[5:6], -v[7:8]
	v_fma_f64 v[11:12], v[3:4], v[11:12], s[12:13]
	v_add_f64 v[7:8], v[7:8], s[10:11]
	s_mov_b32 s10, 11
	s_mov_b32 s11, 0x3fe00000
	v_fma_f64 v[11:12], v[3:4], v[11:12], s[10:11]
	s_mov_b32 s10, 0x9035a22a
	s_mov_b32 s11, 0x3fe5a84e
	v_fma_f64 v[0:1], v[0:1], v[7:8], -v[5:6]
	v_fma_f64 v[7:8], v[3:4], v[11:12], 1.0
	v_add_f64 v[0:1], v[0:1], s[10:11]
	v_fma_f64 v[3:4], v[3:4], v[7:8], 1.0
	v_add_f64 v[0:1], v[0:1], -v[5:6]
	v_cvt_i32_f64_e32 v5, v[9:10]
	v_ldexp_f64 v[3:4], v[3:4], v5
	v_mul_f64 v[0:1], v[0:1], 0.5
	v_mul_f64 v[0:1], v[3:4], v[0:1]
                                        ; implicit-def: $vgpr3_vgpr4
.LBB9_980:
	s_andn2_saveexec_b64 s[10:11], s[0:1]
	s_cbranch_execz .LBB9_982
; %bb.981:
	s_mov_b32 s0, 0
	v_and_b32_e32 v1, 0x7fffffff, v4
	v_mov_b32_e32 v0, v3
	s_mov_b32 s1, 0x40400000
	v_div_scale_f64 v[5:6], s[12:13], v[0:1], v[0:1], s[0:1]
	v_div_scale_f64 v[0:1], vcc, s[0:1], v[0:1], s[0:1]
	s_mov_b32 s12, 0x3b39803f
	s_mov_b32 s13, 0xbc7abc9e
	v_mov_b32_e32 v13, 0xfca7ab0c
	v_mov_b32_e32 v14, 0x3e928af3
	s_mov_b32 s14, 0
	s_brev_b32 s15, 8
	v_mov_b32_e32 v15, 0x100
	v_rcp_f64_e32 v[7:8], v[5:6]
	v_fma_f64 v[9:10], -v[5:6], v[7:8], 1.0
	v_fma_f64 v[7:8], v[7:8], v[9:10], v[7:8]
	v_fma_f64 v[9:10], -v[5:6], v[7:8], 1.0
	v_fma_f64 v[7:8], v[7:8], v[9:10], v[7:8]
	v_mul_f64 v[9:10], v[0:1], v[7:8]
	v_fma_f64 v[0:1], -v[5:6], v[9:10], v[0:1]
	v_mov_b32_e32 v5, 0x66119130
	v_mov_b32_e32 v6, 0xbc5646da
	v_div_fmas_f64 v[0:1], v[0:1], v[7:8], v[9:10]
	v_cmp_lt_f64_e64 vcc, |v[3:4]|, s[14:15]
	v_cndmask_b32_e32 v15, 0, v15, vcc
	v_ldexp_f64 v[15:16], |v[3:4]|, v15
	v_div_fixup_f64 v[0:1], v[0:1], |v[3:4]|, s[0:1]
	s_mov_b32 s1, 0xbc60adb7
	s_mov_b32 s0, 0x54ca8b19
	v_rsq_f64_e32 v[17:18], v[15:16]
	v_add_f64 v[0:1], v[0:1], -2.0
	v_fma_f64 v[5:6], v[0:1], s[0:1], v[5:6]
	s_mov_b32 s1, 0x3c60adb7
	v_mul_f64 v[19:20], v[15:16], v[17:18]
	v_mul_f64 v[17:18], v[17:18], 0.5
	v_fma_f64 v[7:8], v[0:1], v[5:6], s[0:1]
	s_mov_b32 s0, 0x12d98421
	s_mov_b32 s1, 0x3c89be18
	v_fma_f64 v[21:22], -v[17:18], v[19:20], 0.5
	v_add_f64 v[7:8], v[7:8], s[0:1]
	s_mov_b32 s0, 0x76041cd
	s_mov_b32 s1, 0x3c83f3dd
	v_fma_f64 v[19:20], v[19:20], v[21:22], v[19:20]
	v_fma_f64 v[17:18], v[17:18], v[21:22], v[17:18]
	v_fma_f64 v[5:6], v[0:1], v[7:8], -v[5:6]
	v_fma_f64 v[21:22], -v[19:20], v[19:20], v[15:16]
	v_add_f64 v[5:6], v[5:6], s[0:1]
	s_mov_b32 s0, 0xabd21fe4
	s_mov_b32 s1, 0xbcb4600b
	v_fma_f64 v[7:8], v[0:1], v[5:6], -v[7:8]
	v_add_f64 v[7:8], v[7:8], s[0:1]
	s_mov_b32 s0, 0xd908de38
	s_mov_b32 s1, 0xbcb8aee7
	v_fma_f64 v[5:6], v[0:1], v[7:8], -v[5:6]
	;; [unrolled: 4-line block ×14, first 2 shown]
	v_add_f64 v[9:10], v[5:6], s[0:1]
	s_mov_b32 s0, 0x652b82fe
	s_mov_b32 s1, 0x3ff71547
	v_mul_f64 v[5:6], |v[3:4]|, s[0:1]
	s_mov_b32 s0, 0xa9225b87
	s_mov_b32 s1, 0x3e2d2c64
	v_fma_f64 v[7:8], v[0:1], v[9:10], -v[7:8]
	v_rndne_f64_e32 v[5:6], v[5:6]
	v_add_f64 v[11:12], v[7:8], s[0:1]
	s_mov_b32 s0, 0xfefa39ef
	s_mov_b32 s1, 0xbfe62e42
	v_fma_f64 v[7:8], v[5:6], s[0:1], |v[3:4]|
	s_mov_b32 s0, 0x80d6d56d
	s_mov_b32 s1, 0x3e585692
	v_fma_f64 v[9:10], v[0:1], v[11:12], -v[9:10]
	v_fma_f64 v[7:8], v[5:6], s[12:13], v[7:8]
	s_mov_b32 s12, 0x623fde64
	s_mov_b32 s13, 0x3ec71dee
	v_add_f64 v[9:10], v[9:10], s[0:1]
	s_mov_b32 s0, 0x6a5dcb37
	s_mov_b32 s1, 0x3e5ade15
	v_fma_f64 v[13:14], v[7:8], s[0:1], v[13:14]
	s_mov_b32 s0, 0xd9cd616e
	s_mov_b32 s1, 0x3e8b8007
	v_fma_f64 v[11:12], v[0:1], v[9:10], -v[11:12]
	v_fma_f64 v[13:14], v[7:8], v[13:14], s[12:13]
	s_mov_b32 s12, 0x14761f6e
	s_mov_b32 s13, 0x3f2a01a0
	v_add_f64 v[11:12], v[11:12], s[0:1]
	s_mov_b32 s0, 0x7c89e6b0
	s_mov_b32 s1, 0x3efa0199
	v_fma_f64 v[13:14], v[7:8], v[13:14], s[0:1]
	;; [unrolled: 10-line block ×4, first 2 shown]
	s_mov_b32 s0, 0xa2e59049
	s_mov_b32 s1, 0x3f6b998c
	v_fma_f64 v[9:10], v[0:1], v[11:12], -v[9:10]
	v_fma_f64 v[13:14], v[7:8], v[13:14], s[12:13]
	v_add_f64 v[9:10], v[9:10], s[0:1]
	s_mov_b32 s0, 11
	s_mov_b32 s1, 0x3fe00000
	v_fma_f64 v[13:14], v[7:8], v[13:14], s[0:1]
	s_mov_b32 s0, 0xaca809cb
	s_mov_b32 s1, 0x3fe9be62
	v_fma_f64 v[0:1], v[0:1], v[9:10], -v[11:12]
	v_fma_f64 v[9:10], v[21:22], v[17:18], v[19:20]
	v_fma_f64 v[13:14], v[7:8], v[13:14], 1.0
	v_add_f64 v[0:1], v[0:1], s[0:1]
	v_fma_f64 v[19:20], -v[9:10], v[9:10], v[15:16]
	s_mov_b32 s0, 0
	v_fma_f64 v[7:8], v[7:8], v[13:14], 1.0
	s_mov_b32 s1, 0x40900000
	v_cmp_ngt_f64_e64 s[0:1], |v[3:4]|, s[0:1]
	v_mov_b32_e32 v3, 0xffffff80
	v_cndmask_b32_e32 v3, 0, v3, vcc
	v_add_f64 v[0:1], v[0:1], -v[11:12]
	v_cvt_i32_f64_e32 v11, v[5:6]
	v_fma_f64 v[5:6], v[19:20], v[17:18], v[9:10]
	v_mov_b32_e32 v9, 0x7ff00000
	v_mov_b32_e32 v10, 0x260
	v_ldexp_f64 v[7:8], v[7:8], v11
	v_cmp_class_f64_e32 vcc, v[15:16], v10
	v_mul_f64 v[0:1], v[0:1], 0.5
	v_ldexp_f64 v[3:4], v[5:6], v3
	v_cndmask_b32_e64 v6, v9, v8, s[0:1]
	v_cndmask_b32_e64 v5, 0, v7, s[0:1]
	v_mul_f64 v[0:1], v[5:6], v[0:1]
	v_cndmask_b32_e32 v4, v4, v16, vcc
	v_cndmask_b32_e32 v3, v3, v15, vcc
	v_div_scale_f64 v[5:6], s[0:1], v[3:4], v[3:4], v[0:1]
	v_div_scale_f64 v[11:12], vcc, v[0:1], v[3:4], v[0:1]
	v_rcp_f64_e32 v[7:8], v[5:6]
	v_fma_f64 v[9:10], -v[5:6], v[7:8], 1.0
	v_fma_f64 v[7:8], v[7:8], v[9:10], v[7:8]
	v_fma_f64 v[9:10], -v[5:6], v[7:8], 1.0
	v_fma_f64 v[7:8], v[7:8], v[9:10], v[7:8]
	v_mul_f64 v[9:10], v[11:12], v[7:8]
	v_fma_f64 v[5:6], -v[5:6], v[9:10], v[11:12]
	v_div_fmas_f64 v[5:6], v[5:6], v[7:8], v[9:10]
	v_div_fixup_f64 v[0:1], v[5:6], v[3:4], v[0:1]
.LBB9_982:
	s_or_b64 exec, exec, s[10:11]
	s_waitcnt lgkmcnt(0)
	v_mov_b32_e32 v3, s25
	s_and_b32 s18, s73, 0xff
	v_add_co_u32_e32 v5, vcc, s24, v2
	s_cmp_lt_i32 s18, 11
	v_addc_co_u32_e32 v6, vcc, 0, v3, vcc
	s_cbranch_scc1 .LBB9_992
; %bb.983:
	s_and_b32 s19, 0xffff, s18
	s_mov_b64 s[12:13], -1
	s_cmp_gt_i32 s19, 25
	s_mov_b64 s[0:1], s[52:53]
	s_cbranch_scc0 .LBB9_1020
; %bb.984:
	s_mov_b64 s[10:11], -1
	s_cmp_gt_i32 s19, 28
	s_mov_b64 s[0:1], s[52:53]
	s_cbranch_scc0 .LBB9_1004
; %bb.985:
	s_cmp_gt_i32 s19, 43
	s_mov_b64 s[0:1], s[52:53]
	s_cbranch_scc0 .LBB9_1000
; %bb.986:
	;; [unrolled: 4-line block ×3, first 2 shown]
	s_cmp_eq_u32 s19, 46
	s_mov_b64 s[0:1], -1
	s_cbranch_scc0 .LBB9_993
; %bb.988:
	v_cvt_f32_f64_e32 v2, v[0:1]
	s_movk_i32 s0, 0x7fff
	v_mov_b32_e32 v3, 0x7fc0
	s_mov_b64 s[10:11], 0
	v_bfe_u32 v4, v2, 16, 1
	v_cmp_o_f32_e32 vcc, v2, v2
	v_add3_u32 v2, v2, v4, s0
	v_cndmask_b32_sdwa v2, v3, v2, vcc dst_sel:DWORD dst_unused:UNUSED_PAD src0_sel:DWORD src1_sel:WORD_1
	global_store_dword v[5:6], v2, off
	s_mov_b64 s[0:1], 0
	s_branch .LBB9_994
.LBB9_989:
	s_or_b64 exec, exec, s[8:9]
	s_and_saveexec_b64 s[0:1], s[52:53]
	s_cbranch_execnz .LBB9_1062
.LBB9_990:
	s_or_b64 exec, exec, s[0:1]
	s_and_saveexec_b64 s[0:1], s[12:13]
	s_xor_b64 s[0:1], exec, s[0:1]
	s_cbranch_execz .LBB9_1063
.LBB9_991:
	v_cmp_neq_f64_e32 vcc, 0, v[0:1]
	v_cndmask_b32_e64 v2, 0, 1, vcc
	global_store_byte v[5:6], v2, off
	s_or_b64 exec, exec, s[0:1]
	s_and_saveexec_b64 s[0:1], s[10:11]
	s_xor_b64 s[0:1], exec, s[0:1]
	s_cbranch_execz .LBB9_1101
	s_branch .LBB9_1064
.LBB9_992:
	s_mov_b64 s[12:13], 0
	s_mov_b64 s[10:11], -1
	s_mov_b64 s[0:1], s[52:53]
	s_branch .LBB9_1061
.LBB9_993:
	s_mov_b64 s[10:11], 0
.LBB9_994:
	s_and_b64 vcc, exec, s[10:11]
	s_cbranch_vccz .LBB9_999
; %bb.995:
	s_cmp_eq_u32 s19, 44
	s_mov_b64 s[0:1], -1
	s_cbranch_scc0 .LBB9_999
; %bb.996:
	v_cvt_f32_f64_e32 v2, v[0:1]
	s_movk_i32 s0, 0xff
	v_mov_b32_e32 v4, 0xff
	v_bfe_u32 v3, v2, 23, 8
	v_cmp_ne_u32_e32 vcc, s0, v3
	s_and_saveexec_b64 s[10:11], vcc
; %bb.997:
	s_mov_b32 s0, 0x3fffff
	v_lshrrev_b32_e32 v4, 23, v2
	v_and_b32_e32 v7, 0x400000, v2
	v_and_or_b32 v2, v2, s0, v3
	v_cmp_ne_u32_e32 vcc, 0, v7
	v_cmp_ne_u32_e64 s[0:1], 0, v2
	s_and_b64 s[0:1], vcc, s[0:1]
	v_cndmask_b32_e64 v2, 0, 1, s[0:1]
	v_add_u32_e32 v4, v4, v2
; %bb.998:
	s_or_b64 exec, exec, s[10:11]
	s_mov_b64 s[0:1], 0
	global_store_byte v[5:6], v4, off
.LBB9_999:
	s_mov_b64 s[10:11], 0
.LBB9_1000:
	s_and_b64 vcc, exec, s[10:11]
	s_cbranch_vccz .LBB9_1003
; %bb.1001:
	s_cmp_eq_u32 s19, 29
	s_mov_b64 s[0:1], -1
	s_cbranch_scc0 .LBB9_1003
; %bb.1002:
	v_trunc_f64_e32 v[2:3], v[0:1]
	s_movk_i32 s0, 0xffe0
	s_mov_b64 s[10:11], 0
	v_ldexp_f64 v[7:8], v[2:3], s0
	s_mov_b32 s0, 0
	s_mov_b32 s1, 0xc1f00000
	v_floor_f64_e32 v[7:8], v[7:8]
	v_fma_f64 v[2:3], v[7:8], s[0:1], v[2:3]
	v_cvt_u32_f64_e32 v4, v[7:8]
	s_mov_b64 s[0:1], 0
	v_cvt_u32_f64_e32 v3, v[2:3]
	global_store_dwordx2 v[5:6], v[3:4], off
	s_branch .LBB9_1004
.LBB9_1003:
	s_mov_b64 s[10:11], 0
.LBB9_1004:
	s_and_b64 vcc, exec, s[10:11]
	s_cbranch_vccz .LBB9_1019
; %bb.1005:
	s_cmp_lt_i32 s19, 27
	s_mov_b64 s[10:11], -1
	s_cbranch_scc1 .LBB9_1011
; %bb.1006:
	s_cmp_gt_i32 s19, 27
	s_cbranch_scc0 .LBB9_1008
; %bb.1007:
	v_cvt_u32_f64_e32 v2, v[0:1]
	s_mov_b64 s[10:11], 0
	global_store_dword v[5:6], v2, off
.LBB9_1008:
	s_andn2_b64 vcc, exec, s[10:11]
	s_cbranch_vccnz .LBB9_1010
; %bb.1009:
	v_cvt_u32_f64_e32 v2, v[0:1]
	global_store_short v[5:6], v2, off
.LBB9_1010:
	s_mov_b64 s[10:11], 0
.LBB9_1011:
	s_andn2_b64 vcc, exec, s[10:11]
	s_cbranch_vccnz .LBB9_1019
; %bb.1012:
	v_cvt_f32_f64_e32 v2, v[0:1]
	s_mov_b32 s10, 0x43800000
	v_mov_b32_e32 v4, 0x80
	v_and_b32_e32 v3, 0x7fffffff, v2
	v_cmp_gt_u32_e32 vcc, s10, v3
	s_and_saveexec_b64 s[10:11], vcc
	s_cbranch_execz .LBB9_1018
; %bb.1013:
	s_mov_b32 s12, 0x3bffffff
	v_cmp_lt_u32_e32 vcc, s12, v3
	s_mov_b64 s[12:13], 0
                                        ; implicit-def: $vgpr3
	s_and_saveexec_b64 s[14:15], vcc
	s_xor_b64 s[14:15], exec, s[14:15]
	s_cbranch_execz .LBB9_1172
; %bb.1014:
	v_bfe_u32 v3, v2, 20, 1
	s_mov_b32 s16, 0x487ffff
	v_add3_u32 v3, v2, v3, s16
	s_mov_b64 s[12:13], exec
	v_lshrrev_b32_e32 v3, 20, v3
	s_andn2_saveexec_b64 s[14:15], s[14:15]
	s_cbranch_execnz .LBB9_1173
.LBB9_1015:
	s_or_b64 exec, exec, s[14:15]
	v_mov_b32_e32 v4, 0
	s_and_saveexec_b64 s[14:15], s[12:13]
.LBB9_1016:
	v_lshrrev_b32_e32 v2, 24, v2
	s_movk_i32 s12, 0x80
	v_and_or_b32 v4, v2, s12, v3
.LBB9_1017:
	s_or_b64 exec, exec, s[14:15]
.LBB9_1018:
	s_or_b64 exec, exec, s[10:11]
	global_store_byte v[5:6], v4, off
.LBB9_1019:
	s_mov_b64 s[12:13], 0
.LBB9_1020:
	s_mov_b64 s[10:11], 0
	s_and_b64 vcc, exec, s[12:13]
	s_cbranch_vccz .LBB9_1060
; %bb.1021:
	s_cmp_gt_i32 s19, 22
	s_mov_b64 s[12:13], -1
	s_cbranch_scc0 .LBB9_1053
; %bb.1022:
	s_cmp_lt_i32 s19, 24
	s_cbranch_scc1 .LBB9_1042
; %bb.1023:
	s_cmp_gt_i32 s19, 24
	s_cbranch_scc0 .LBB9_1031
; %bb.1024:
	v_cvt_f32_f64_e32 v2, v[0:1]
	s_mov_b32 s12, 0x47800000
	v_mov_b32_e32 v4, 0x80
	v_and_b32_e32 v3, 0x7fffffff, v2
	v_cmp_gt_u32_e32 vcc, s12, v3
	s_and_saveexec_b64 s[12:13], vcc
	s_cbranch_execz .LBB9_1030
; %bb.1025:
	s_mov_b32 s14, 0x37ffffff
	v_cmp_lt_u32_e32 vcc, s14, v3
	s_mov_b64 s[14:15], 0
                                        ; implicit-def: $vgpr3
	s_and_saveexec_b64 s[16:17], vcc
	s_xor_b64 s[16:17], exec, s[16:17]
	s_cbranch_execz .LBB9_1301
; %bb.1026:
	v_bfe_u32 v3, v2, 21, 1
	s_mov_b32 s20, 0x88fffff
	v_add3_u32 v3, v2, v3, s20
	s_mov_b64 s[14:15], exec
	v_lshrrev_b32_e32 v3, 21, v3
	s_andn2_saveexec_b64 s[16:17], s[16:17]
	s_cbranch_execnz .LBB9_1302
.LBB9_1027:
	s_or_b64 exec, exec, s[16:17]
	v_mov_b32_e32 v4, 0
	s_and_saveexec_b64 s[16:17], s[14:15]
.LBB9_1028:
	v_lshrrev_b32_e32 v2, 24, v2
	s_movk_i32 s14, 0x80
	v_and_or_b32 v4, v2, s14, v3
.LBB9_1029:
	s_or_b64 exec, exec, s[16:17]
.LBB9_1030:
	s_or_b64 exec, exec, s[12:13]
	s_mov_b64 s[12:13], 0
	global_store_byte v[5:6], v4, off
.LBB9_1031:
	s_and_b64 vcc, exec, s[12:13]
	s_cbranch_vccz .LBB9_1041
; %bb.1032:
	v_cvt_f32_f64_e32 v2, v[0:1]
	s_mov_b32 s12, 0x43f00000
                                        ; implicit-def: $vgpr3
	v_and_b32_e32 v4, 0x7fffffff, v2
	v_cmp_gt_u32_e32 vcc, s12, v4
	s_and_saveexec_b64 s[12:13], vcc
	s_xor_b64 s[12:13], exec, s[12:13]
	s_cbranch_execz .LBB9_1038
; %bb.1033:
	s_mov_b32 s14, 0x3c7fffff
	v_cmp_lt_u32_e32 vcc, s14, v4
                                        ; implicit-def: $vgpr3
	s_and_saveexec_b64 s[14:15], vcc
	s_xor_b64 s[14:15], exec, s[14:15]
; %bb.1034:
	v_bfe_u32 v3, v2, 20, 1
	s_mov_b32 s16, 0x407ffff
	v_add3_u32 v3, v2, v3, s16
	v_lshrrev_b32_e32 v4, 20, v3
	v_and_b32_e32 v3, 0xff00000, v3
	s_mov_b32 s16, 0x7f00000
	v_mov_b32_e32 v7, 0x7e
	v_cmp_ne_u32_e32 vcc, s16, v3
	v_cndmask_b32_e32 v3, v7, v4, vcc
; %bb.1035:
	s_andn2_saveexec_b64 s[14:15], s[14:15]
; %bb.1036:
	s_mov_b32 s16, 0x46800000
	v_add_f32_e64 v3, |v2|, s16
; %bb.1037:
	s_or_b64 exec, exec, s[14:15]
                                        ; implicit-def: $vgpr4
.LBB9_1038:
	s_andn2_saveexec_b64 s[12:13], s[12:13]
; %bb.1039:
	s_mov_b32 s14, 0x7f800000
	v_mov_b32_e32 v3, 0x7e
	v_mov_b32_e32 v7, 0x7f
	v_cmp_lt_u32_e32 vcc, s14, v4
	v_cndmask_b32_e32 v3, v3, v7, vcc
; %bb.1040:
	s_or_b64 exec, exec, s[12:13]
	v_lshrrev_b32_e32 v2, 24, v2
	s_movk_i32 s12, 0x80
	v_and_or_b32 v2, v2, s12, v3
	global_store_byte v[5:6], v2, off
.LBB9_1041:
	s_mov_b64 s[12:13], 0
.LBB9_1042:
	s_andn2_b64 vcc, exec, s[12:13]
	s_cbranch_vccnz .LBB9_1052
; %bb.1043:
	v_cvt_f32_f64_e32 v2, v[0:1]
	s_mov_b32 s12, 0x47800000
                                        ; implicit-def: $vgpr3
	v_and_b32_e32 v4, 0x7fffffff, v2
	v_cmp_gt_u32_e32 vcc, s12, v4
	s_and_saveexec_b64 s[12:13], vcc
	s_xor_b64 s[12:13], exec, s[12:13]
	s_cbranch_execz .LBB9_1049
; %bb.1044:
	s_mov_b32 s14, 0x387fffff
	v_cmp_lt_u32_e32 vcc, s14, v4
                                        ; implicit-def: $vgpr3
	s_and_saveexec_b64 s[14:15], vcc
	s_xor_b64 s[14:15], exec, s[14:15]
; %bb.1045:
	v_bfe_u32 v3, v2, 21, 1
	s_mov_b32 s16, 0x80fffff
	v_add3_u32 v3, v2, v3, s16
	v_lshrrev_b32_e32 v3, 21, v3
; %bb.1046:
	s_andn2_saveexec_b64 s[14:15], s[14:15]
; %bb.1047:
	s_mov_b32 s16, 0x43000000
	v_add_f32_e64 v3, |v2|, s16
; %bb.1048:
	s_or_b64 exec, exec, s[14:15]
                                        ; implicit-def: $vgpr4
.LBB9_1049:
	s_andn2_saveexec_b64 s[12:13], s[12:13]
; %bb.1050:
	s_mov_b32 s14, 0x7f800000
	v_mov_b32_e32 v3, 0x7c
	v_mov_b32_e32 v7, 0x7f
	v_cmp_lt_u32_e32 vcc, s14, v4
	v_cndmask_b32_e32 v3, v3, v7, vcc
; %bb.1051:
	s_or_b64 exec, exec, s[12:13]
	v_lshrrev_b32_e32 v2, 24, v2
	s_movk_i32 s12, 0x80
	v_and_or_b32 v2, v2, s12, v3
	global_store_byte v[5:6], v2, off
.LBB9_1052:
	s_mov_b64 s[12:13], 0
.LBB9_1053:
	s_andn2_b64 vcc, exec, s[12:13]
	s_mov_b64 s[12:13], 0
	s_cbranch_vccnz .LBB9_1061
; %bb.1054:
	s_cmp_gt_i32 s19, 14
	s_mov_b64 s[14:15], -1
	s_cbranch_scc0 .LBB9_1058
; %bb.1055:
	s_cmp_eq_u32 s19, 15
	s_mov_b64 s[0:1], -1
	s_cbranch_scc0 .LBB9_1057
; %bb.1056:
	v_cvt_f32_f64_e32 v2, v[0:1]
	s_movk_i32 s0, 0x7fff
	v_mov_b32_e32 v3, 0x7fc0
	v_bfe_u32 v4, v2, 16, 1
	v_cmp_o_f32_e32 vcc, v2, v2
	v_add3_u32 v2, v2, v4, s0
	v_cndmask_b32_sdwa v2, v3, v2, vcc dst_sel:DWORD dst_unused:UNUSED_PAD src0_sel:DWORD src1_sel:WORD_1
	global_store_short v[5:6], v2, off
	s_mov_b64 s[0:1], 0
.LBB9_1057:
	s_mov_b64 s[14:15], 0
.LBB9_1058:
	s_and_b64 vcc, exec, s[14:15]
	s_cbranch_vccz .LBB9_1061
; %bb.1059:
	s_cmp_lg_u32 s19, 11
	s_cselect_b64 s[14:15], -1, 0
	s_andn2_b64 s[0:1], s[0:1], exec
	s_and_b64 s[14:15], s[14:15], exec
	s_mov_b64 s[12:13], -1
	s_or_b64 s[0:1], s[0:1], s[14:15]
	s_branch .LBB9_1061
.LBB9_1060:
	s_mov_b64 s[12:13], 0
.LBB9_1061:
	s_andn2_b64 s[14:15], s[52:53], exec
	s_and_b64 s[0:1], s[0:1], exec
	s_and_b64 s[10:11], s[10:11], exec
	;; [unrolled: 1-line block ×3, first 2 shown]
	s_or_b64 s[52:53], s[14:15], s[0:1]
	s_or_b64 exec, exec, s[8:9]
	s_and_saveexec_b64 s[0:1], s[52:53]
	s_cbranch_execz .LBB9_990
.LBB9_1062:
	s_or_b64 s[2:3], s[2:3], exec
	s_andn2_b64 s[12:13], s[12:13], exec
	s_trap 2
	s_or_b64 exec, exec, s[0:1]
	s_and_saveexec_b64 s[0:1], s[12:13]
	s_xor_b64 s[0:1], exec, s[0:1]
	s_cbranch_execnz .LBB9_991
.LBB9_1063:
	s_or_b64 exec, exec, s[0:1]
	s_and_saveexec_b64 s[0:1], s[10:11]
	s_xor_b64 s[0:1], exec, s[0:1]
	s_cbranch_execz .LBB9_1101
.LBB9_1064:
	s_sext_i32_i16 s10, s18
	s_cmp_lt_i32 s10, 5
	s_mov_b64 s[8:9], -1
	s_cbranch_scc1 .LBB9_1085
; %bb.1065:
	s_cmp_lt_i32 s10, 8
	s_cbranch_scc1 .LBB9_1075
; %bb.1066:
	s_cmp_lt_i32 s10, 9
	s_cbranch_scc1 .LBB9_1072
; %bb.1067:
	s_cmp_gt_i32 s10, 9
	s_cbranch_scc0 .LBB9_1069
; %bb.1068:
	v_mov_b32_e32 v2, 0
	s_waitcnt vmcnt(0)
	v_mov_b32_e32 v3, v2
	s_mov_b64 s[8:9], 0
	global_store_dwordx4 v[5:6], v[0:3], off
.LBB9_1069:
	s_andn2_b64 vcc, exec, s[8:9]
	s_cbranch_vccnz .LBB9_1071
; %bb.1070:
	v_cvt_f32_f64_e32 v2, v[0:1]
	s_waitcnt vmcnt(0)
	v_mov_b32_e32 v3, 0
	global_store_dwordx2 v[5:6], v[2:3], off
.LBB9_1071:
	s_mov_b64 s[8:9], 0
.LBB9_1072:
	s_andn2_b64 vcc, exec, s[8:9]
	s_cbranch_vccnz .LBB9_1074
; %bb.1073:
	s_movk_i32 s8, 0x1ff
	v_and_or_b32 v2, v1, s8, v0
	v_cmp_ne_u32_e32 vcc, 0, v2
	v_cndmask_b32_e64 v2, 0, 1, vcc
	s_waitcnt vmcnt(0)
	v_lshrrev_b32_e32 v3, 8, v1
	s_movk_i32 s8, 0xffe
	v_bfe_u32 v4, v1, 20, 11
	v_and_or_b32 v2, v3, s8, v2
	v_sub_u32_e32 v7, 0x3f1, v4
	v_or_b32_e32 v3, 0x1000, v2
	v_med3_i32 v7, v7, 0, 13
	v_lshrrev_b32_e32 v8, v7, v3
	v_lshlrev_b32_e32 v7, v7, v8
	v_cmp_ne_u32_e32 vcc, v7, v3
	v_cndmask_b32_e64 v3, 0, 1, vcc
	v_add_u32_e32 v4, 0xfffffc10, v4
	v_or_b32_e32 v3, v8, v3
	v_lshl_or_b32 v7, v4, 12, v2
	v_cmp_gt_i32_e32 vcc, 1, v4
	v_cndmask_b32_e32 v3, v7, v3, vcc
	v_and_b32_e32 v7, 7, v3
	v_cmp_lt_i32_e32 vcc, 5, v7
	v_cndmask_b32_e64 v8, 0, 1, vcc
	v_cmp_eq_u32_e32 vcc, 3, v7
	v_cndmask_b32_e64 v7, 0, 1, vcc
	v_or_b32_e32 v7, v7, v8
	v_lshrrev_b32_e32 v3, 2, v3
	v_add_u32_e32 v3, v3, v7
	v_mov_b32_e32 v7, 0x7c00
	v_cmp_gt_i32_e32 vcc, 31, v4
	v_cndmask_b32_e32 v3, v7, v3, vcc
	v_mov_b32_e32 v8, 0x7e00
	v_cmp_ne_u32_e32 vcc, 0, v2
	s_movk_i32 s8, 0x40f
	v_cndmask_b32_e32 v2, v7, v8, vcc
	v_cmp_eq_u32_e32 vcc, s8, v4
	v_cndmask_b32_e32 v2, v3, v2, vcc
	v_lshrrev_b32_e32 v3, 16, v1
	s_mov_b32 s8, 0x8000
	v_and_or_b32 v2, v3, s8, v2
	v_and_b32_e32 v2, 0xffff, v2
	global_store_dword v[5:6], v2, off
.LBB9_1074:
	s_mov_b64 s[8:9], 0
.LBB9_1075:
	s_andn2_b64 vcc, exec, s[8:9]
	s_cbranch_vccnz .LBB9_1084
; %bb.1076:
	s_sext_i32_i16 s10, s18
	s_cmp_lt_i32 s10, 6
	s_mov_b64 s[8:9], -1
	s_cbranch_scc1 .LBB9_1082
; %bb.1077:
	s_cmp_gt_i32 s10, 6
	s_cbranch_scc0 .LBB9_1079
; %bb.1078:
	s_mov_b64 s[8:9], 0
	global_store_dwordx2 v[5:6], v[0:1], off
.LBB9_1079:
	s_andn2_b64 vcc, exec, s[8:9]
	s_cbranch_vccnz .LBB9_1081
; %bb.1080:
	v_cvt_f32_f64_e32 v2, v[0:1]
	global_store_dword v[5:6], v2, off
.LBB9_1081:
	s_mov_b64 s[8:9], 0
.LBB9_1082:
	s_andn2_b64 vcc, exec, s[8:9]
	s_cbranch_vccnz .LBB9_1084
; %bb.1083:
	s_movk_i32 s8, 0x1ff
	v_and_or_b32 v2, v1, s8, v0
	v_cmp_ne_u32_e32 vcc, 0, v2
	v_cndmask_b32_e64 v2, 0, 1, vcc
	s_waitcnt vmcnt(0)
	v_lshrrev_b32_e32 v3, 8, v1
	s_movk_i32 s8, 0xffe
	v_bfe_u32 v4, v1, 20, 11
	v_and_or_b32 v2, v3, s8, v2
	v_sub_u32_e32 v7, 0x3f1, v4
	v_or_b32_e32 v3, 0x1000, v2
	v_med3_i32 v7, v7, 0, 13
	v_lshrrev_b32_e32 v8, v7, v3
	v_lshlrev_b32_e32 v7, v7, v8
	v_cmp_ne_u32_e32 vcc, v7, v3
	v_cndmask_b32_e64 v3, 0, 1, vcc
	v_add_u32_e32 v4, 0xfffffc10, v4
	v_or_b32_e32 v3, v8, v3
	v_lshl_or_b32 v7, v4, 12, v2
	v_cmp_gt_i32_e32 vcc, 1, v4
	v_cndmask_b32_e32 v3, v7, v3, vcc
	v_and_b32_e32 v7, 7, v3
	v_cmp_lt_i32_e32 vcc, 5, v7
	v_cndmask_b32_e64 v8, 0, 1, vcc
	v_cmp_eq_u32_e32 vcc, 3, v7
	v_cndmask_b32_e64 v7, 0, 1, vcc
	v_or_b32_e32 v7, v7, v8
	v_lshrrev_b32_e32 v3, 2, v3
	v_add_u32_e32 v3, v3, v7
	v_mov_b32_e32 v7, 0x7c00
	v_cmp_gt_i32_e32 vcc, 31, v4
	v_cndmask_b32_e32 v3, v7, v3, vcc
	v_mov_b32_e32 v8, 0x7e00
	v_cmp_ne_u32_e32 vcc, 0, v2
	s_movk_i32 s8, 0x40f
	v_cndmask_b32_e32 v2, v7, v8, vcc
	v_cmp_eq_u32_e32 vcc, s8, v4
	v_cndmask_b32_e32 v2, v3, v2, vcc
	v_lshrrev_b32_e32 v3, 16, v1
	s_mov_b32 s8, 0x8000
	v_and_or_b32 v2, v3, s8, v2
	global_store_short v[5:6], v2, off
.LBB9_1084:
	s_mov_b64 s[8:9], 0
.LBB9_1085:
	s_andn2_b64 vcc, exec, s[8:9]
	s_cbranch_vccnz .LBB9_1101
; %bb.1086:
	s_sext_i32_i16 s10, s18
	s_cmp_lt_i32 s10, 2
	s_mov_b64 s[8:9], -1
	s_cbranch_scc1 .LBB9_1096
; %bb.1087:
	s_cmp_lt_i32 s10, 3
	s_cbranch_scc1 .LBB9_1093
; %bb.1088:
	s_cmp_gt_i32 s10, 3
	s_cbranch_scc0 .LBB9_1090
; %bb.1089:
	s_waitcnt vmcnt(0)
	v_trunc_f64_e32 v[2:3], v[0:1]
	s_movk_i32 s8, 0xffe0
	v_ldexp_f64 v[7:8], v[2:3], s8
	s_mov_b32 s8, 0
	s_mov_b32 s9, 0xc1f00000
	v_floor_f64_e32 v[7:8], v[7:8]
	v_fma_f64 v[2:3], v[7:8], s[8:9], v[2:3]
	v_cvt_i32_f64_e32 v4, v[7:8]
	s_mov_b64 s[8:9], 0
	v_cvt_u32_f64_e32 v3, v[2:3]
	global_store_dwordx2 v[5:6], v[3:4], off
.LBB9_1090:
	s_andn2_b64 vcc, exec, s[8:9]
	s_cbranch_vccnz .LBB9_1092
; %bb.1091:
	v_cvt_i32_f64_e32 v2, v[0:1]
	global_store_dword v[5:6], v2, off
.LBB9_1092:
	s_mov_b64 s[8:9], 0
.LBB9_1093:
	s_andn2_b64 vcc, exec, s[8:9]
	s_cbranch_vccnz .LBB9_1095
; %bb.1094:
	v_cvt_i32_f64_e32 v2, v[0:1]
	global_store_short v[5:6], v2, off
.LBB9_1095:
	s_mov_b64 s[8:9], 0
.LBB9_1096:
	s_andn2_b64 vcc, exec, s[8:9]
	s_cbranch_vccnz .LBB9_1101
; %bb.1097:
	s_sext_i32_i16 s8, s18
	s_cmp_gt_i32 s8, 0
	s_mov_b64 s[8:9], -1
	s_cbranch_scc0 .LBB9_1099
; %bb.1098:
	v_cvt_i32_f64_e32 v2, v[0:1]
	s_mov_b64 s[8:9], 0
	global_store_byte v[5:6], v2, off
.LBB9_1099:
	s_andn2_b64 vcc, exec, s[8:9]
	s_cbranch_vccnz .LBB9_1101
; %bb.1100:
	v_trunc_f64_e32 v[0:1], v[0:1]
	s_movk_i32 s8, 0xffe0
	s_waitcnt vmcnt(0)
	v_ldexp_f64 v[2:3], v[0:1], s8
	s_mov_b32 s8, 0
	s_mov_b32 s9, 0xc1f00000
	v_floor_f64_e32 v[2:3], v[2:3]
	v_fma_f64 v[0:1], v[2:3], s[8:9], v[0:1]
	v_cvt_u32_f64_e32 v0, v[0:1]
	global_store_byte v[5:6], v0, off
.LBB9_1101:
	s_or_b64 exec, exec, s[0:1]
	s_waitcnt lgkmcnt(0)
	s_and_b64 s[28:29], s[2:3], exec
                                        ; implicit-def: $vgpr5
                                        ; implicit-def: $vgpr11
.LBB9_1102:
	s_or_saveexec_b64 s[30:31], s[42:43]
	s_mov_b64 s[0:1], 0
                                        ; implicit-def: $vgpr0_vgpr1
                                        ; implicit-def: $sgpr14
                                        ; implicit-def: $vgpr12_vgpr13
	s_xor_b64 exec, exec, s[30:31]
	s_cbranch_execz .LBB9_1768
; %bb.1103:
	v_cndmask_b32_e64 v0, 0, 1, s[40:41]
	v_cmp_ne_u32_e64 s[0:1], 1, v0
	s_andn2_b64 vcc, exec, s[40:41]
	s_cbranch_vccnz .LBB9_1109
; %bb.1104:
	s_cmp_lg_u32 s33, 0
	s_mov_b32 s36, 0
	s_cbranch_scc0 .LBB9_1110
; %bb.1105:
	s_min_u32 s37, s72, 15
	s_add_i32 s37, s37, 1
	s_cmp_eq_u32 s72, 2
	s_cbranch_scc1 .LBB9_1111
; %bb.1106:
	s_and_b32 s36, s37, 28
	s_add_u32 s2, s34, 0xc4
	s_addc_u32 s3, s35, 0
	v_mov_b32_e32 v0, 0
	s_mov_b32 s38, 0
	s_mov_b64 s[6:7], s[34:35]
	v_mov_b32_e32 v2, 0
	v_mov_b32_e32 v1, v11
.LBB9_1107:                             ; =>This Inner Loop Header: Depth=1
	s_load_dwordx8 s[16:23], s[6:7], 0x4
	s_load_dwordx4 s[24:27], s[6:7], 0x24
	s_load_dwordx8 s[8:15], s[2:3], 0x0
	s_add_u32 s6, s6, 48
	s_addc_u32 s7, s7, 0
	s_waitcnt vmcnt(0) lgkmcnt(0)
	v_mul_hi_u32 v3, s17, v1
	s_add_i32 s38, s38, 4
	s_add_u32 s2, s2, 32
	s_addc_u32 s3, s3, 0
	v_add_u32_e32 v3, v1, v3
	v_lshrrev_b32_e32 v3, s18, v3
	v_mul_lo_u32 v4, v3, s16
	v_mul_hi_u32 v6, s20, v3
	s_cmp_lg_u32 s36, s38
	v_sub_u32_e32 v1, v1, v4
	v_add_u32_e32 v4, v3, v6
	v_mul_lo_u32 v6, v1, s8
	v_mul_lo_u32 v7, v1, s9
	v_lshrrev_b32_e32 v1, s21, v4
	v_mul_lo_u32 v4, v1, s19
	v_mul_hi_u32 v8, s23, v1
	v_sub_u32_e32 v3, v3, v4
	v_add_u32_e32 v4, v1, v8
	v_lshrrev_b32_e32 v4, s24, v4
	v_mul_hi_u32 v9, s26, v4
	v_mul_lo_u32 v10, v4, s22
	v_mul_lo_u32 v8, v3, s10
	;; [unrolled: 1-line block ×3, first 2 shown]
	v_sub_u32_e32 v10, v1, v10
	v_add_u32_e32 v1, v4, v9
	v_lshrrev_b32_e32 v1, s27, v1
	v_mul_lo_u32 v9, v1, s25
	v_mul_lo_u32 v12, v10, s12
	;; [unrolled: 1-line block ×3, first 2 shown]
	v_add3_u32 v2, v6, v2, v8
	v_sub_u32_e32 v4, v4, v9
	v_mul_lo_u32 v9, v4, s14
	v_mul_lo_u32 v4, v4, s15
	v_add3_u32 v0, v7, v0, v3
	v_add3_u32 v2, v12, v2, v9
	;; [unrolled: 1-line block ×3, first 2 shown]
	s_cbranch_scc1 .LBB9_1107
; %bb.1108:
	s_and_b32 s8, s37, 3
	s_cmp_eq_u32 s8, 0
	s_cbranch_scc0 .LBB9_1112
	s_branch .LBB9_1114
.LBB9_1109:
                                        ; implicit-def: $vgpr2
                                        ; implicit-def: $vgpr0
	s_branch .LBB9_1115
.LBB9_1110:
	v_mov_b32_e32 v2, 0
	v_mov_b32_e32 v0, 0
	s_branch .LBB9_1114
.LBB9_1111:
	v_mov_b32_e32 v2, 0
	v_mov_b32_e32 v0, 0
	;; [unrolled: 1-line block ×3, first 2 shown]
	s_and_b32 s8, s37, 3
	s_cmp_eq_u32 s8, 0
	s_cbranch_scc1 .LBB9_1114
.LBB9_1112:
	s_lshl_b32 s2, s36, 3
	s_add_u32 s2, s34, s2
	s_addc_u32 s3, s35, 0
	s_add_u32 s2, s2, 0xc4
	s_addc_u32 s3, s3, 0
	s_mul_i32 s6, s36, 12
	s_add_u32 s6, s34, s6
	s_addc_u32 s7, s35, 0
.LBB9_1113:                             ; =>This Inner Loop Header: Depth=1
	s_load_dwordx2 s[10:11], s[6:7], 0x4
	s_load_dword s9, s[6:7], 0xc
	s_load_dwordx2 s[12:13], s[2:3], 0x0
	s_add_u32 s6, s6, 12
	s_addc_u32 s7, s7, 0
	s_waitcnt vmcnt(0) lgkmcnt(0)
	v_mul_hi_u32 v3, s11, v1
	s_add_u32 s2, s2, 8
	s_addc_u32 s3, s3, 0
	s_add_i32 s8, s8, -1
	v_add_u32_e32 v3, v1, v3
	v_lshrrev_b32_e32 v4, s9, v3
	v_mul_lo_u32 v3, v4, s10
	s_cmp_lg_u32 s8, 0
	v_sub_u32_e32 v1, v1, v3
	v_mad_u64_u32 v[2:3], s[10:11], v1, s12, v[2:3]
	v_mad_u64_u32 v[0:1], s[10:11], v1, s13, v[0:1]
	v_mov_b32_e32 v1, v4
	s_cbranch_scc1 .LBB9_1113
.LBB9_1114:
	s_cbranch_execnz .LBB9_1117
.LBB9_1115:
	s_load_dwordx4 s[8:11], s[34:35], 0x4
	s_load_dwordx2 s[2:3], s[34:35], 0xc4
	s_cmp_lt_u32 s33, 2
	s_waitcnt lgkmcnt(0)
	v_mul_hi_u32 v0, s9, v11
	v_add_u32_e32 v0, v11, v0
	v_lshrrev_b32_e32 v1, s10, v0
	v_mul_lo_u32 v0, v1, s8
	v_sub_u32_e32 v0, v11, v0
	v_mul_lo_u32 v2, v0, s2
	v_mul_lo_u32 v0, v0, s3
	s_cbranch_scc1 .LBB9_1117
; %bb.1116:
	s_load_dwordx4 s[8:11], s[34:35], 0x10
	s_load_dwordx2 s[2:3], s[34:35], 0xcc
	s_waitcnt vmcnt(0) lgkmcnt(0)
	v_mul_hi_u32 v3, s9, v1
	v_add_u32_e32 v3, v1, v3
	v_lshrrev_b32_e32 v3, s10, v3
	v_mul_lo_u32 v3, v3, s8
	v_sub_u32_e32 v1, v1, v3
	v_mad_u64_u32 v[2:3], s[6:7], v1, s2, v[2:3]
	v_mad_u64_u32 v[0:1], s[2:3], v1, s3, v[0:1]
.LBB9_1117:
	s_and_b64 vcc, exec, s[0:1]
	v_add_u32_e32 v1, 0x80, v11
	s_cbranch_vccnz .LBB9_1123
; %bb.1118:
	s_cmp_lg_u32 s33, 0
	s_mov_b32 s36, 0
	s_cbranch_scc0 .LBB9_1124
; %bb.1119:
	s_min_u32 s37, s72, 15
	s_add_i32 s37, s37, 1
	s_cmp_eq_u32 s72, 2
	s_cbranch_scc1 .LBB9_1125
; %bb.1120:
	s_and_b32 s36, s37, 28
	s_add_u32 s2, s34, 0xc4
	s_addc_u32 s3, s35, 0
	v_mov_b32_e32 v9, 0
	s_mov_b32 s38, 0
	s_mov_b64 s[6:7], s[34:35]
	v_mov_b32_e32 v6, 0
	s_waitcnt vmcnt(0)
	v_mov_b32_e32 v3, v1
.LBB9_1121:                             ; =>This Inner Loop Header: Depth=1
	s_load_dwordx8 s[16:23], s[6:7], 0x4
	s_load_dwordx4 s[24:27], s[6:7], 0x24
	s_load_dwordx8 s[8:15], s[2:3], 0x0
	s_add_u32 s6, s6, 48
	s_addc_u32 s7, s7, 0
	s_waitcnt lgkmcnt(0)
	v_mul_hi_u32 v4, s17, v3
	s_add_i32 s38, s38, 4
	s_add_u32 s2, s2, 32
	s_addc_u32 s3, s3, 0
	v_add_u32_e32 v4, v3, v4
	v_lshrrev_b32_e32 v4, s18, v4
	v_mul_lo_u32 v7, v4, s16
	v_mul_hi_u32 v8, s20, v4
	s_cmp_lg_u32 s36, s38
	v_sub_u32_e32 v3, v3, v7
	v_add_u32_e32 v7, v4, v8
	v_mul_lo_u32 v8, v3, s8
	v_mul_lo_u32 v10, v3, s9
	v_lshrrev_b32_e32 v3, s21, v7
	v_mul_lo_u32 v7, v3, s19
	v_mul_hi_u32 v12, s23, v3
	v_sub_u32_e32 v4, v4, v7
	v_add_u32_e32 v7, v3, v12
	v_lshrrev_b32_e32 v7, s24, v7
	v_mul_hi_u32 v13, s26, v7
	v_mul_lo_u32 v14, v7, s22
	v_mul_lo_u32 v12, v4, s10
	;; [unrolled: 1-line block ×3, first 2 shown]
	v_sub_u32_e32 v14, v3, v14
	v_add_u32_e32 v3, v7, v13
	v_lshrrev_b32_e32 v3, s27, v3
	v_mul_lo_u32 v13, v3, s25
	v_mul_lo_u32 v15, v14, s12
	;; [unrolled: 1-line block ×3, first 2 shown]
	v_add3_u32 v6, v8, v6, v12
	v_sub_u32_e32 v7, v7, v13
	v_mul_lo_u32 v13, v7, s14
	v_mul_lo_u32 v7, v7, s15
	v_add3_u32 v4, v10, v9, v4
	v_add3_u32 v6, v15, v6, v13
	;; [unrolled: 1-line block ×3, first 2 shown]
	s_cbranch_scc1 .LBB9_1121
; %bb.1122:
	s_and_b32 s8, s37, 3
	s_cmp_eq_u32 s8, 0
	s_cbranch_scc0 .LBB9_1126
	s_branch .LBB9_1128
.LBB9_1123:
                                        ; implicit-def: $vgpr6
                                        ; implicit-def: $vgpr9
	s_branch .LBB9_1129
.LBB9_1124:
	v_mov_b32_e32 v6, 0
	v_mov_b32_e32 v9, 0
	s_branch .LBB9_1128
.LBB9_1125:
	v_mov_b32_e32 v6, 0
	v_mov_b32_e32 v9, 0
	s_waitcnt vmcnt(0)
	v_mov_b32_e32 v3, v1
	s_and_b32 s8, s37, 3
	s_cmp_eq_u32 s8, 0
	s_cbranch_scc1 .LBB9_1128
.LBB9_1126:
	s_lshl_b32 s2, s36, 3
	s_add_u32 s2, s34, s2
	s_addc_u32 s3, s35, 0
	s_add_u32 s2, s2, 0xc4
	s_addc_u32 s3, s3, 0
	s_mul_i32 s6, s36, 12
	s_add_u32 s6, s34, s6
	s_addc_u32 s7, s35, 0
.LBB9_1127:                             ; =>This Inner Loop Header: Depth=1
	s_load_dwordx2 s[10:11], s[6:7], 0x4
	s_load_dword s9, s[6:7], 0xc
	s_load_dwordx2 s[12:13], s[2:3], 0x0
	s_add_u32 s6, s6, 12
	s_addc_u32 s7, s7, 0
	s_waitcnt lgkmcnt(0)
	v_mul_hi_u32 v4, s11, v3
	s_add_u32 s2, s2, 8
	s_addc_u32 s3, s3, 0
	s_add_i32 s8, s8, -1
	v_add_u32_e32 v4, v3, v4
	v_lshrrev_b32_e32 v4, s9, v4
	v_mul_lo_u32 v7, v4, s10
	s_cmp_lg_u32 s8, 0
	v_sub_u32_e32 v3, v3, v7
	v_mad_u64_u32 v[6:7], s[10:11], v3, s12, v[6:7]
	v_mad_u64_u32 v[9:10], s[10:11], v3, s13, v[9:10]
	v_mov_b32_e32 v3, v4
	s_cbranch_scc1 .LBB9_1127
.LBB9_1128:
	s_cbranch_execnz .LBB9_1131
.LBB9_1129:
	s_load_dwordx4 s[8:11], s[34:35], 0x4
	s_load_dwordx2 s[2:3], s[34:35], 0xc4
	s_cmp_lt_u32 s33, 2
	s_waitcnt vmcnt(0) lgkmcnt(0)
	v_mul_hi_u32 v3, s9, v1
	v_add_u32_e32 v3, v1, v3
	v_lshrrev_b32_e32 v3, s10, v3
	v_mul_lo_u32 v4, v3, s8
	v_sub_u32_e32 v1, v1, v4
	v_mul_lo_u32 v6, v1, s2
	v_mul_lo_u32 v9, v1, s3
	s_cbranch_scc1 .LBB9_1131
; %bb.1130:
	s_load_dwordx4 s[8:11], s[34:35], 0x10
	s_load_dwordx2 s[2:3], s[34:35], 0xcc
	s_waitcnt lgkmcnt(0)
	v_mul_hi_u32 v1, s9, v3
	v_add_u32_e32 v1, v3, v1
	v_lshrrev_b32_e32 v1, s10, v1
	v_mul_lo_u32 v1, v1, s8
	v_sub_u32_e32 v1, v3, v1
	v_mad_u64_u32 v[6:7], s[6:7], v1, s2, v[6:7]
	v_mad_u64_u32 v[9:10], s[2:3], v1, s3, v[9:10]
.LBB9_1131:
	s_and_b64 vcc, exec, s[0:1]
	v_add_u32_e32 v1, 0x100, v11
	s_cbranch_vccnz .LBB9_1137
; %bb.1132:
	s_cmp_lg_u32 s33, 0
	s_mov_b32 s36, 0
	s_cbranch_scc0 .LBB9_1138
; %bb.1133:
	s_min_u32 s37, s72, 15
	s_add_i32 s37, s37, 1
	s_cmp_eq_u32 s72, 2
	s_cbranch_scc1 .LBB9_1139
; %bb.1134:
	s_and_b32 s36, s37, 28
	s_add_u32 s2, s34, 0xc4
	s_addc_u32 s3, s35, 0
	v_mov_b32_e32 v7, 0
	s_mov_b32 s38, 0
	s_mov_b64 s[6:7], s[34:35]
	v_mov_b32_e32 v10, 0
	s_waitcnt vmcnt(0)
	v_mov_b32_e32 v3, v1
.LBB9_1135:                             ; =>This Inner Loop Header: Depth=1
	s_load_dwordx8 s[16:23], s[6:7], 0x4
	s_load_dwordx4 s[24:27], s[6:7], 0x24
	s_load_dwordx8 s[8:15], s[2:3], 0x0
	s_add_u32 s6, s6, 48
	s_addc_u32 s7, s7, 0
	s_waitcnt lgkmcnt(0)
	v_mul_hi_u32 v4, s17, v3
	s_add_i32 s38, s38, 4
	s_add_u32 s2, s2, 32
	s_addc_u32 s3, s3, 0
	v_add_u32_e32 v4, v3, v4
	v_lshrrev_b32_e32 v4, s18, v4
	v_mul_lo_u32 v8, v4, s16
	v_mul_hi_u32 v11, s20, v4
	s_cmp_lg_u32 s36, s38
	v_sub_u32_e32 v3, v3, v8
	v_add_u32_e32 v8, v4, v11
	v_mul_lo_u32 v11, v3, s8
	v_mul_lo_u32 v12, v3, s9
	v_lshrrev_b32_e32 v3, s21, v8
	v_mul_lo_u32 v8, v3, s19
	v_mul_hi_u32 v13, s23, v3
	v_sub_u32_e32 v4, v4, v8
	v_add_u32_e32 v8, v3, v13
	v_lshrrev_b32_e32 v8, s24, v8
	v_mul_hi_u32 v14, s26, v8
	v_mul_lo_u32 v15, v8, s22
	v_mul_lo_u32 v13, v4, s10
	;; [unrolled: 1-line block ×3, first 2 shown]
	v_sub_u32_e32 v15, v3, v15
	v_add_u32_e32 v3, v8, v14
	v_lshrrev_b32_e32 v3, s27, v3
	v_mul_lo_u32 v14, v3, s25
	v_mul_lo_u32 v16, v15, s12
	;; [unrolled: 1-line block ×3, first 2 shown]
	v_add3_u32 v10, v11, v10, v13
	v_sub_u32_e32 v8, v8, v14
	v_mul_lo_u32 v14, v8, s14
	v_mul_lo_u32 v8, v8, s15
	v_add3_u32 v4, v12, v7, v4
	v_add3_u32 v10, v16, v10, v14
	;; [unrolled: 1-line block ×3, first 2 shown]
	s_cbranch_scc1 .LBB9_1135
; %bb.1136:
	s_and_b32 s8, s37, 3
	s_cmp_eq_u32 s8, 0
	s_cbranch_scc0 .LBB9_1140
	s_branch .LBB9_1142
.LBB9_1137:
                                        ; implicit-def: $vgpr10
                                        ; implicit-def: $vgpr7
	s_branch .LBB9_1143
.LBB9_1138:
	v_mov_b32_e32 v10, 0
	v_mov_b32_e32 v7, 0
	s_branch .LBB9_1142
.LBB9_1139:
	v_mov_b32_e32 v10, 0
	v_mov_b32_e32 v7, 0
	s_waitcnt vmcnt(0)
	v_mov_b32_e32 v3, v1
	s_and_b32 s8, s37, 3
	s_cmp_eq_u32 s8, 0
	s_cbranch_scc1 .LBB9_1142
.LBB9_1140:
	s_lshl_b32 s2, s36, 3
	s_add_u32 s2, s34, s2
	s_addc_u32 s3, s35, 0
	s_add_u32 s2, s2, 0xc4
	s_addc_u32 s3, s3, 0
	s_mul_i32 s6, s36, 12
	s_add_u32 s6, s34, s6
	s_addc_u32 s7, s35, 0
.LBB9_1141:                             ; =>This Inner Loop Header: Depth=1
	s_load_dwordx2 s[10:11], s[6:7], 0x4
	s_load_dword s9, s[6:7], 0xc
	s_load_dwordx2 s[12:13], s[2:3], 0x0
	s_add_u32 s6, s6, 12
	s_addc_u32 s7, s7, 0
	s_waitcnt lgkmcnt(0)
	v_mul_hi_u32 v4, s11, v3
	s_add_u32 s2, s2, 8
	s_addc_u32 s3, s3, 0
	s_add_i32 s8, s8, -1
	v_add_u32_e32 v4, v3, v4
	v_lshrrev_b32_e32 v4, s9, v4
	v_mul_lo_u32 v8, v4, s10
	s_cmp_lg_u32 s8, 0
	v_sub_u32_e32 v3, v3, v8
	v_mad_u64_u32 v[10:11], s[10:11], v3, s12, v[10:11]
	v_mad_u64_u32 v[7:8], s[10:11], v3, s13, v[7:8]
	v_mov_b32_e32 v3, v4
	s_cbranch_scc1 .LBB9_1141
.LBB9_1142:
	s_cbranch_execnz .LBB9_1145
.LBB9_1143:
	s_load_dwordx4 s[8:11], s[34:35], 0x4
	s_load_dwordx2 s[2:3], s[34:35], 0xc4
	s_cmp_lt_u32 s33, 2
	s_waitcnt vmcnt(0) lgkmcnt(0)
	v_mul_hi_u32 v3, s9, v1
	v_add_u32_e32 v3, v1, v3
	v_lshrrev_b32_e32 v3, s10, v3
	v_mul_lo_u32 v4, v3, s8
	v_sub_u32_e32 v1, v1, v4
	v_mul_lo_u32 v10, v1, s2
	v_mul_lo_u32 v7, v1, s3
	s_cbranch_scc1 .LBB9_1145
; %bb.1144:
	s_load_dwordx4 s[8:11], s[34:35], 0x10
	s_load_dwordx2 s[2:3], s[34:35], 0xcc
	s_waitcnt lgkmcnt(0)
	v_mul_hi_u32 v1, s9, v3
	v_add_u32_e32 v1, v3, v1
	v_lshrrev_b32_e32 v1, s10, v1
	v_mul_lo_u32 v1, v1, s8
	v_sub_u32_e32 v1, v3, v1
	v_mad_u64_u32 v[10:11], s[6:7], v1, s2, v[10:11]
	v_mad_u64_u32 v[7:8], s[2:3], v1, s3, v[7:8]
.LBB9_1145:
	s_and_b64 vcc, exec, s[0:1]
	s_cbranch_vccnz .LBB9_1151
; %bb.1146:
	s_cmp_lg_u32 s33, 0
	s_mov_b32 s26, 0
	s_cbranch_scc0 .LBB9_1152
; %bb.1147:
	s_min_u32 s27, s72, 15
	s_add_i32 s27, s27, 1
	s_cmp_eq_u32 s72, 2
	s_cbranch_scc1 .LBB9_1153
; %bb.1148:
	s_and_b32 s26, s27, 28
	s_add_u32 s6, s34, 0xc4
	s_addc_u32 s7, s35, 0
	s_waitcnt vmcnt(0)
	v_mov_b32_e32 v3, 0
	s_mov_b32 s36, 0
	s_mov_b64 s[24:25], s[34:35]
	v_mov_b32_e32 v14, 0
	v_mov_b32_e32 v1, v5
.LBB9_1149:                             ; =>This Inner Loop Header: Depth=1
	s_load_dwordx8 s[16:23], s[24:25], 0x4
	s_load_dwordx4 s[0:3], s[24:25], 0x24
	s_load_dwordx8 s[8:15], s[6:7], 0x0
	s_add_u32 s24, s24, 48
	s_addc_u32 s25, s25, 0
	s_waitcnt lgkmcnt(0)
	v_mul_hi_u32 v4, s17, v1
	s_add_i32 s36, s36, 4
	s_add_u32 s6, s6, 32
	s_addc_u32 s7, s7, 0
	v_add_u32_e32 v4, v1, v4
	v_lshrrev_b32_e32 v4, s18, v4
	v_mul_lo_u32 v8, v4, s16
	v_mul_hi_u32 v11, s20, v4
	s_cmp_lg_u32 s26, s36
	v_sub_u32_e32 v1, v1, v8
	v_add_u32_e32 v8, v4, v11
	v_mul_lo_u32 v11, v1, s8
	v_mul_lo_u32 v12, v1, s9
	v_lshrrev_b32_e32 v1, s21, v8
	v_mul_lo_u32 v8, v1, s19
	v_mul_hi_u32 v13, s23, v1
	v_sub_u32_e32 v4, v4, v8
	v_add_u32_e32 v8, v1, v13
	v_lshrrev_b32_e32 v8, s0, v8
	v_mul_hi_u32 v15, s2, v8
	v_mul_lo_u32 v16, v8, s22
	v_mul_lo_u32 v13, v4, s10
	;; [unrolled: 1-line block ×3, first 2 shown]
	v_sub_u32_e32 v16, v1, v16
	v_add_u32_e32 v1, v8, v15
	v_lshrrev_b32_e32 v1, s3, v1
	v_mul_lo_u32 v15, v1, s1
	v_mul_lo_u32 v17, v16, s12
	;; [unrolled: 1-line block ×3, first 2 shown]
	v_add3_u32 v11, v11, v14, v13
	v_sub_u32_e32 v8, v8, v15
	v_mul_lo_u32 v15, v8, s14
	v_mul_lo_u32 v8, v8, s15
	v_add3_u32 v3, v12, v3, v4
	v_add3_u32 v14, v17, v11, v15
	;; [unrolled: 1-line block ×3, first 2 shown]
	s_cbranch_scc1 .LBB9_1149
; %bb.1150:
	s_and_b32 s6, s27, 3
	s_cmp_eq_u32 s6, 0
	s_cbranch_scc0 .LBB9_1154
	s_branch .LBB9_1156
.LBB9_1151:
                                        ; implicit-def: $vgpr14
                                        ; implicit-def: $vgpr3
	s_branch .LBB9_1157
.LBB9_1152:
	v_mov_b32_e32 v14, 0
	s_waitcnt vmcnt(0)
	v_mov_b32_e32 v3, 0
	s_branch .LBB9_1156
.LBB9_1153:
	v_mov_b32_e32 v14, 0
	s_waitcnt vmcnt(0)
	v_mov_b32_e32 v3, 0
	v_mov_b32_e32 v1, v5
	s_and_b32 s6, s27, 3
	s_cmp_eq_u32 s6, 0
	s_cbranch_scc1 .LBB9_1156
.LBB9_1154:
	s_lshl_b32 s0, s26, 3
	s_add_u32 s0, s34, s0
	s_addc_u32 s1, s35, 0
	s_add_u32 s0, s0, 0xc4
	s_addc_u32 s1, s1, 0
	s_mul_i32 s2, s26, 12
	s_add_u32 s2, s34, s2
	s_addc_u32 s3, s35, 0
.LBB9_1155:                             ; =>This Inner Loop Header: Depth=1
	s_load_dwordx2 s[8:9], s[2:3], 0x4
	s_load_dword s7, s[2:3], 0xc
	s_load_dwordx2 s[10:11], s[0:1], 0x0
	s_add_u32 s2, s2, 12
	s_addc_u32 s3, s3, 0
	s_waitcnt lgkmcnt(0)
	v_mul_hi_u32 v4, s9, v1
	s_add_u32 s0, s0, 8
	s_addc_u32 s1, s1, 0
	s_add_i32 s6, s6, -1
	v_add_u32_e32 v4, v1, v4
	v_lshrrev_b32_e32 v8, s7, v4
	v_mul_lo_u32 v4, v8, s8
	s_cmp_lg_u32 s6, 0
	v_sub_u32_e32 v1, v1, v4
	v_mad_u64_u32 v[14:15], s[8:9], v1, s10, v[14:15]
	v_mad_u64_u32 v[3:4], s[8:9], v1, s11, v[3:4]
	v_mov_b32_e32 v1, v8
	s_cbranch_scc1 .LBB9_1155
.LBB9_1156:
	s_cbranch_execnz .LBB9_1159
.LBB9_1157:
	s_load_dwordx4 s[0:3], s[34:35], 0x4
	s_load_dwordx2 s[6:7], s[34:35], 0xc4
	s_cmp_lt_u32 s33, 2
	s_waitcnt lgkmcnt(0)
	v_mul_hi_u32 v1, s1, v5
	v_add_u32_e32 v1, v5, v1
	v_lshrrev_b32_e32 v1, s2, v1
	s_waitcnt vmcnt(0)
	v_mul_lo_u32 v3, v1, s0
	v_sub_u32_e32 v3, v5, v3
	v_mul_lo_u32 v14, v3, s6
	v_mul_lo_u32 v3, v3, s7
	s_cbranch_scc1 .LBB9_1159
; %bb.1158:
	s_load_dwordx4 s[0:3], s[34:35], 0x10
	s_load_dwordx2 s[6:7], s[34:35], 0xcc
	s_waitcnt lgkmcnt(0)
	v_mul_hi_u32 v4, s1, v1
	v_add_u32_e32 v4, v1, v4
	v_lshrrev_b32_e32 v4, s2, v4
	v_mul_lo_u32 v4, v4, s0
	v_sub_u32_e32 v1, v1, v4
	v_mad_u64_u32 v[14:15], s[0:1], v1, s6, v[14:15]
	v_mad_u64_u32 v[3:4], s[0:1], v1, s7, v[3:4]
.LBB9_1159:
	s_load_dwordx4 s[8:11], s[34:35], 0x148
	s_load_dword s16, s[4:5], 0x160
	s_waitcnt lgkmcnt(0)
	v_mov_b32_e32 v1, s11
	s_bfe_u32 s14, s16, 0x80010
	v_add_co_u32_e32 v0, vcc, s10, v0
	s_cmp_lt_i32 s14, 11
	v_addc_co_u32_e32 v1, vcc, 0, v1, vcc
	s_cbranch_scc1 .LBB9_1166
; %bb.1160:
	s_and_b32 s15, 0xffff, s14
	s_cmp_gt_i32 s15, 25
	s_mov_b64 s[4:5], 0
	s_cbranch_scc0 .LBB9_1168
; %bb.1161:
	s_cmp_gt_i32 s15, 28
	s_cbranch_scc0 .LBB9_1169
; %bb.1162:
	s_cmp_gt_i32 s15, 43
	s_cbranch_scc0 .LBB9_1170
; %bb.1163:
	s_cmp_gt_i32 s15, 45
	s_cbranch_scc0 .LBB9_1171
; %bb.1164:
	s_cmp_eq_u32 s15, 46
	s_mov_b64 s[2:3], 0
	s_cbranch_scc0 .LBB9_1174
; %bb.1165:
	global_load_dword v4, v[0:1], off
	s_mov_b64 s[0:1], 0
	s_mov_b64 s[6:7], -1
	s_waitcnt vmcnt(0)
	v_lshlrev_b32_e32 v4, 16, v4
	v_cvt_f64_f32_e32 v[4:5], v4
	s_branch .LBB9_1175
.LBB9_1166:
	s_mov_b64 s[6:7], 0
                                        ; implicit-def: $vgpr4_vgpr5
	s_mov_b64 s[2:3], s[28:29]
	s_cbranch_execnz .LBB9_1238
.LBB9_1167:
	s_andn2_b64 vcc, exec, s[6:7]
	s_cbranch_vccz .LBB9_1283
	s_branch .LBB9_1765
.LBB9_1168:
	s_mov_b64 s[6:7], 0
	s_mov_b64 s[0:1], 0
                                        ; implicit-def: $vgpr4_vgpr5
	s_cbranch_execnz .LBB9_1205
	s_branch .LBB9_1234
.LBB9_1169:
	s_mov_b64 s[2:3], -1
	s_mov_b64 s[6:7], 0
	s_mov_b64 s[0:1], 0
                                        ; implicit-def: $vgpr4_vgpr5
	s_branch .LBB9_1184
.LBB9_1170:
	s_mov_b64 s[6:7], 0
	s_mov_b64 s[0:1], 0
                                        ; implicit-def: $vgpr4_vgpr5
	s_cbranch_execnz .LBB9_1180
	s_branch .LBB9_1183
.LBB9_1171:
	s_mov_b64 s[2:3], -1
	s_mov_b64 s[6:7], 0
	s_mov_b64 s[0:1], 0
                                        ; implicit-def: $vgpr4_vgpr5
	s_branch .LBB9_1175
.LBB9_1172:
	s_andn2_saveexec_b64 s[14:15], s[14:15]
	s_cbranch_execz .LBB9_1015
.LBB9_1173:
	s_mov_b32 s16, 0x46000000
	v_add_f32_e64 v3, |v2|, s16
	v_and_b32_e32 v3, 0xff, v3
	v_cmp_ne_u32_e32 vcc, 0, v3
	s_andn2_b64 s[12:13], s[12:13], exec
	s_and_b64 s[16:17], vcc, exec
	s_or_b64 s[12:13], s[12:13], s[16:17]
	s_or_b64 exec, exec, s[14:15]
	v_mov_b32_e32 v4, 0
	s_and_saveexec_b64 s[14:15], s[12:13]
	s_cbranch_execnz .LBB9_1016
	s_branch .LBB9_1017
.LBB9_1174:
	s_mov_b64 s[0:1], -1
                                        ; implicit-def: $vgpr4_vgpr5
	s_mov_b64 s[6:7], 0
.LBB9_1175:
	s_and_b64 vcc, exec, s[2:3]
	s_cbranch_vccz .LBB9_1178
; %bb.1176:
	s_cmp_eq_u32 s15, 44
	s_cbranch_scc0 .LBB9_1179
; %bb.1177:
	global_load_ubyte v8, v[0:1], off
	s_movk_i32 s2, 0xff
	v_bfrev_b32_e32 v11, 4
	v_mov_b32_e32 v12, 0x7ff80000
	v_bfrev_b32_e32 v13, 28
	s_mov_b64 s[0:1], 0
	s_mov_b64 s[6:7], -1
	s_waitcnt vmcnt(0)
	v_lshlrev_b32_e32 v4, 23, v8
	v_cvt_f64_f32_e32 v[4:5], v4
	v_cmp_ne_u32_e32 vcc, s2, v8
	v_cndmask_b32_e32 v4, v11, v4, vcc
	v_cndmask_b32_e32 v5, v12, v5, vcc
	v_cmp_ne_u32_e32 vcc, 0, v8
	v_cndmask_b32_e32 v5, v13, v5, vcc
	v_cndmask_b32_e32 v4, 0, v4, vcc
.LBB9_1178:
	s_branch .LBB9_1183
.LBB9_1179:
	s_mov_b64 s[0:1], -1
                                        ; implicit-def: $vgpr4_vgpr5
	s_branch .LBB9_1183
.LBB9_1180:
	s_cmp_eq_u32 s15, 29
	s_cbranch_scc0 .LBB9_1182
; %bb.1181:
	global_load_dwordx2 v[4:5], v[0:1], off
	s_mov_b64 s[0:1], 0
	s_mov_b64 s[6:7], -1
	s_mov_b64 s[2:3], 0
	s_waitcnt vmcnt(0)
	v_cvt_f64_u32_e32 v[11:12], v5
	v_cvt_f64_u32_e32 v[4:5], v4
	v_ldexp_f64 v[11:12], v[11:12], 32
	v_add_f64 v[4:5], v[11:12], v[4:5]
	s_branch .LBB9_1184
.LBB9_1182:
	s_mov_b64 s[0:1], -1
                                        ; implicit-def: $vgpr4_vgpr5
.LBB9_1183:
	s_mov_b64 s[2:3], 0
.LBB9_1184:
	s_and_b64 vcc, exec, s[2:3]
	s_cbranch_vccz .LBB9_1204
; %bb.1185:
	s_cmp_lt_i32 s15, 27
	s_cbranch_scc1 .LBB9_1188
; %bb.1186:
	s_cmp_gt_i32 s15, 27
	s_cbranch_scc0 .LBB9_1189
; %bb.1187:
	global_load_dword v4, v[0:1], off
	s_mov_b64 s[2:3], 0
	s_waitcnt vmcnt(0)
	v_cvt_f64_u32_e32 v[4:5], v4
	s_branch .LBB9_1190
.LBB9_1188:
	s_mov_b64 s[2:3], -1
                                        ; implicit-def: $vgpr4_vgpr5
	s_branch .LBB9_1193
.LBB9_1189:
	s_mov_b64 s[2:3], -1
                                        ; implicit-def: $vgpr4_vgpr5
.LBB9_1190:
	s_andn2_b64 vcc, exec, s[2:3]
	s_cbranch_vccnz .LBB9_1192
; %bb.1191:
	global_load_ushort v4, v[0:1], off
	s_waitcnt vmcnt(0)
	v_cvt_f64_u32_e32 v[4:5], v4
.LBB9_1192:
	s_mov_b64 s[2:3], 0
.LBB9_1193:
	s_andn2_b64 vcc, exec, s[2:3]
	s_cbranch_vccnz .LBB9_1203
; %bb.1194:
	global_load_ubyte v8, v[0:1], off
	s_movk_i32 s2, 0x7f
	s_waitcnt vmcnt(0)
	v_cmp_lt_i16_e32 vcc, s2, v8
	s_mov_b64 s[2:3], 0
	s_and_saveexec_b64 s[6:7], vcc
	s_xor_b64 s[6:7], exec, s[6:7]
	s_cbranch_execz .LBB9_1198
; %bb.1195:
	s_movk_i32 s2, 0x80
	v_cmp_eq_u16_e32 vcc, s2, v8
	s_mov_b64 s[2:3], -1
	s_and_saveexec_b64 s[12:13], vcc
; %bb.1196:
	s_xor_b64 s[2:3], exec, -1
; %bb.1197:
	s_or_b64 exec, exec, s[12:13]
	s_and_b64 s[2:3], s[2:3], exec
.LBB9_1198:
	s_or_saveexec_b64 s[6:7], s[6:7]
	v_bfrev_b32_e32 v4, 4
	v_mov_b32_e32 v5, 0x7ff80000
	s_xor_b64 exec, exec, s[6:7]
; %bb.1199:
	v_cmp_ne_u16_e32 vcc, 0, v8
	v_mov_b32_e32 v4, 0
	s_andn2_b64 s[2:3], s[2:3], exec
	s_and_b64 s[12:13], vcc, exec
	v_mov_b32_e32 v5, 0
	s_or_b64 s[2:3], s[2:3], s[12:13]
; %bb.1200:
	s_or_b64 exec, exec, s[6:7]
	s_and_saveexec_b64 s[6:7], s[2:3]
	s_cbranch_execz .LBB9_1202
; %bb.1201:
	v_and_b32_e32 v5, 0xffff, v8
	v_lshlrev_b32_e32 v4, 24, v8
	v_and_b32_e32 v8, 7, v5
	v_ffbh_u32_e32 v12, v8
	v_min_u32_e32 v12, 32, v12
	v_subrev_u32_e32 v13, 28, v12
	v_bfe_u32 v11, v5, 3, 4
	v_lshlrev_b32_e32 v5, v13, v5
	v_sub_u32_e32 v12, 29, v12
	v_and_b32_e32 v5, 7, v5
	v_cmp_eq_u32_e32 vcc, 0, v11
	v_cndmask_b32_e32 v11, v11, v12, vcc
	v_cndmask_b32_e32 v5, v8, v5, vcc
	v_mov_b32_e32 v8, 0x3b800000
	v_lshlrev_b32_e32 v5, 20, v5
	v_and_b32_e32 v4, 0x80000000, v4
	v_lshl_add_u32 v8, v11, 23, v8
	v_or3_b32 v4, v4, v8, v5
	v_cvt_f64_f32_e32 v[4:5], v4
.LBB9_1202:
	s_or_b64 exec, exec, s[6:7]
.LBB9_1203:
	s_mov_b64 s[6:7], -1
.LBB9_1204:
	s_branch .LBB9_1234
.LBB9_1205:
	s_cmp_gt_i32 s15, 22
	s_cbranch_scc0 .LBB9_1217
; %bb.1206:
	s_cmp_lt_i32 s15, 24
	s_cbranch_scc1 .LBB9_1218
; %bb.1207:
	s_cmp_gt_i32 s15, 24
	s_cbranch_scc0 .LBB9_1219
; %bb.1208:
	global_load_ubyte v8, v[0:1], off
	s_movk_i32 s2, 0x7f
	s_waitcnt vmcnt(0)
	v_cmp_lt_i16_e32 vcc, s2, v8
	s_mov_b64 s[2:3], 0
	s_and_saveexec_b64 s[4:5], vcc
	s_xor_b64 s[4:5], exec, s[4:5]
	s_cbranch_execz .LBB9_1212
; %bb.1209:
	s_movk_i32 s2, 0x80
	v_cmp_eq_u16_e32 vcc, s2, v8
	s_mov_b64 s[2:3], -1
	s_and_saveexec_b64 s[6:7], vcc
; %bb.1210:
	s_xor_b64 s[2:3], exec, -1
; %bb.1211:
	s_or_b64 exec, exec, s[6:7]
	s_and_b64 s[2:3], s[2:3], exec
.LBB9_1212:
	s_or_saveexec_b64 s[4:5], s[4:5]
	v_bfrev_b32_e32 v4, 4
	v_mov_b32_e32 v5, 0x7ff80000
	s_xor_b64 exec, exec, s[4:5]
; %bb.1213:
	v_cmp_ne_u16_e32 vcc, 0, v8
	v_mov_b32_e32 v4, 0
	s_andn2_b64 s[2:3], s[2:3], exec
	s_and_b64 s[6:7], vcc, exec
	v_mov_b32_e32 v5, 0
	s_or_b64 s[2:3], s[2:3], s[6:7]
; %bb.1214:
	s_or_b64 exec, exec, s[4:5]
	s_and_saveexec_b64 s[4:5], s[2:3]
	s_cbranch_execz .LBB9_1216
; %bb.1215:
	v_and_b32_e32 v5, 0xffff, v8
	v_lshlrev_b32_e32 v4, 24, v8
	v_and_b32_e32 v8, 3, v5
	v_ffbh_u32_e32 v12, v8
	v_min_u32_e32 v12, 32, v12
	v_subrev_u32_e32 v13, 29, v12
	v_bfe_u32 v11, v5, 2, 5
	v_lshlrev_b32_e32 v5, v13, v5
	v_sub_u32_e32 v12, 30, v12
	v_and_b32_e32 v5, 3, v5
	v_cmp_eq_u32_e32 vcc, 0, v11
	v_cndmask_b32_e32 v11, v11, v12, vcc
	v_cndmask_b32_e32 v5, v8, v5, vcc
	v_mov_b32_e32 v8, 0x37800000
	v_lshlrev_b32_e32 v5, 21, v5
	v_and_b32_e32 v4, 0x80000000, v4
	v_lshl_add_u32 v8, v11, 23, v8
	v_or3_b32 v4, v4, v8, v5
	v_cvt_f64_f32_e32 v[4:5], v4
.LBB9_1216:
	s_or_b64 exec, exec, s[4:5]
	s_mov_b64 s[2:3], 0
	s_branch .LBB9_1220
.LBB9_1217:
                                        ; implicit-def: $vgpr4_vgpr5
	s_mov_b64 s[4:5], 0
	s_branch .LBB9_1226
.LBB9_1218:
	s_mov_b64 s[2:3], -1
                                        ; implicit-def: $vgpr4_vgpr5
	s_branch .LBB9_1223
.LBB9_1219:
	s_mov_b64 s[2:3], -1
                                        ; implicit-def: $vgpr4_vgpr5
.LBB9_1220:
	s_and_b64 vcc, exec, s[2:3]
	s_cbranch_vccz .LBB9_1222
; %bb.1221:
	global_load_ubyte v4, v[0:1], off
	s_mov_b32 s2, 0x7f800000
	s_waitcnt vmcnt(0)
	v_lshlrev_b32_e32 v4, 24, v4
	v_and_b32_e32 v5, 0x7f000000, v4
	v_ffbh_u32_e32 v8, v5
	v_min_u32_e32 v8, 32, v8
	v_sub_u32_e64 v8, v8, 4 clamp
	v_lshlrev_b32_e32 v12, v8, v5
	v_lshlrev_b32_e32 v8, 23, v8
	v_lshrrev_b32_e32 v12, 4, v12
	v_add_u32_e32 v11, 0x1000000, v5
	v_sub_u32_e32 v8, v12, v8
	v_ashrrev_i32_e32 v11, 8, v11
	v_add_u32_e32 v8, 0x3c000000, v8
	v_and_or_b32 v8, v11, s2, v8
	v_cmp_ne_u32_e32 vcc, 0, v5
	v_cndmask_b32_e32 v5, 0, v8, vcc
	s_brev_b32 s2, 1
	v_and_or_b32 v4, v4, s2, v5
	v_cvt_f64_f32_e32 v[4:5], v4
.LBB9_1222:
	s_mov_b64 s[2:3], 0
.LBB9_1223:
	s_andn2_b64 vcc, exec, s[2:3]
	s_cbranch_vccnz .LBB9_1225
; %bb.1224:
	global_load_ubyte v4, v[0:1], off
	s_movk_i32 s2, 0x7f00
	s_brev_b32 s3, 16
	s_waitcnt vmcnt(0)
	v_lshlrev_b16_e32 v5, 8, v4
	v_lshlrev_b32_e32 v4, 25, v4
	v_lshrrev_b32_e32 v8, 4, v4
	v_and_or_b32 v11, v5, s2, 0.5
	v_or_b32_e32 v8, 0x70000000, v8
	v_add_f32_e32 v11, -0.5, v11
	v_mul_f32_e32 v8, 0x7800000, v8
	v_cmp_gt_u32_e32 vcc, s3, v4
	v_bfe_i32 v5, v5, 0, 16
	v_cndmask_b32_e32 v4, v8, v11, vcc
	s_brev_b32 s2, 1
	v_and_or_b32 v4, v5, s2, v4
	v_cvt_f64_f32_e32 v[4:5], v4
.LBB9_1225:
	s_mov_b64 s[6:7], -1
	s_mov_b64 s[4:5], 0
	s_cbranch_execnz .LBB9_1234
.LBB9_1226:
	s_cmp_gt_i32 s15, 14
	s_cbranch_scc0 .LBB9_1229
; %bb.1227:
	s_cmp_eq_u32 s15, 15
	s_cbranch_scc0 .LBB9_1230
; %bb.1228:
	global_load_ushort v4, v[0:1], off
	s_mov_b64 s[0:1], 0
	s_mov_b64 s[6:7], -1
	s_waitcnt vmcnt(0)
	v_lshlrev_b32_e32 v4, 16, v4
	v_cvt_f64_f32_e32 v[4:5], v4
	s_branch .LBB9_1231
.LBB9_1229:
	s_mov_b64 s[2:3], -1
                                        ; implicit-def: $vgpr4_vgpr5
	s_branch .LBB9_1232
.LBB9_1230:
	s_mov_b64 s[0:1], -1
                                        ; implicit-def: $vgpr4_vgpr5
.LBB9_1231:
	s_mov_b64 s[2:3], 0
.LBB9_1232:
	s_and_b64 vcc, exec, s[2:3]
	s_cbranch_vccz .LBB9_1234
; %bb.1233:
	s_cmp_lg_u32 s15, 11
	s_mov_b64 s[4:5], -1
	s_cselect_b64 s[0:1], -1, 0
.LBB9_1234:
	s_and_b64 vcc, exec, s[0:1]
	s_mov_b64 s[2:3], s[28:29]
	s_cbranch_vccnz .LBB9_1299
; %bb.1235:
	s_andn2_b64 vcc, exec, s[4:5]
	s_cbranch_vccnz .LBB9_1237
.LBB9_1236:
	global_load_ubyte v5, v[0:1], off
	v_mov_b32_e32 v8, 0x3ff00000
	s_waitcnt vmcnt(1)
	v_mov_b32_e32 v4, 0
	s_mov_b64 s[6:7], -1
	s_waitcnt vmcnt(0)
	v_cmp_ne_u16_e32 vcc, 0, v5
	v_cndmask_b32_e32 v5, 0, v8, vcc
.LBB9_1237:
	s_branch .LBB9_1167
.LBB9_1238:
	s_and_b32 s4, 0xffff, s14
	s_cmp_lt_i32 s4, 5
	s_cbranch_scc1 .LBB9_1243
; %bb.1239:
	s_cmp_lt_i32 s4, 8
	s_cbranch_scc1 .LBB9_1244
; %bb.1240:
	;; [unrolled: 3-line block ×3, first 2 shown]
	s_cmp_gt_i32 s4, 9
	s_cbranch_scc0 .LBB9_1246
; %bb.1242:
	global_load_dwordx2 v[4:5], v[0:1], off
	s_mov_b64 s[0:1], 0
	s_branch .LBB9_1247
.LBB9_1243:
                                        ; implicit-def: $vgpr4_vgpr5
	s_branch .LBB9_1264
.LBB9_1244:
                                        ; implicit-def: $vgpr4_vgpr5
	s_branch .LBB9_1253
.LBB9_1245:
	s_mov_b64 s[0:1], -1
                                        ; implicit-def: $vgpr4_vgpr5
	s_branch .LBB9_1250
.LBB9_1246:
	s_mov_b64 s[0:1], -1
                                        ; implicit-def: $vgpr4_vgpr5
.LBB9_1247:
	s_andn2_b64 vcc, exec, s[0:1]
	s_cbranch_vccnz .LBB9_1249
; %bb.1248:
	global_load_dword v4, v[0:1], off
	s_waitcnt vmcnt(0)
	v_cvt_f64_f32_e32 v[4:5], v4
.LBB9_1249:
	s_mov_b64 s[0:1], 0
.LBB9_1250:
	s_andn2_b64 vcc, exec, s[0:1]
	s_cbranch_vccnz .LBB9_1252
; %bb.1251:
	global_load_dword v4, v[0:1], off
	s_waitcnt vmcnt(0)
	v_cvt_f32_f16_e32 v4, v4
	v_cvt_f64_f32_e32 v[4:5], v4
.LBB9_1252:
	s_cbranch_execnz .LBB9_1263
.LBB9_1253:
	s_cmp_lt_i32 s4, 6
	s_cbranch_scc1 .LBB9_1256
; %bb.1254:
	s_cmp_gt_i32 s4, 6
	s_cbranch_scc0 .LBB9_1257
; %bb.1255:
	global_load_dwordx2 v[4:5], v[0:1], off
	s_mov_b64 s[0:1], 0
	s_branch .LBB9_1258
.LBB9_1256:
	s_mov_b64 s[0:1], -1
                                        ; implicit-def: $vgpr4_vgpr5
	s_branch .LBB9_1261
.LBB9_1257:
	s_mov_b64 s[0:1], -1
                                        ; implicit-def: $vgpr4_vgpr5
.LBB9_1258:
	s_andn2_b64 vcc, exec, s[0:1]
	s_cbranch_vccnz .LBB9_1260
; %bb.1259:
	global_load_dword v4, v[0:1], off
	s_waitcnt vmcnt(0)
	v_cvt_f64_f32_e32 v[4:5], v4
.LBB9_1260:
	s_mov_b64 s[0:1], 0
.LBB9_1261:
	s_andn2_b64 vcc, exec, s[0:1]
	s_cbranch_vccnz .LBB9_1263
; %bb.1262:
	global_load_ushort v4, v[0:1], off
	s_waitcnt vmcnt(0)
	v_cvt_f32_f16_e32 v4, v4
	v_cvt_f64_f32_e32 v[4:5], v4
.LBB9_1263:
	s_cbranch_execnz .LBB9_1282
.LBB9_1264:
	s_cmp_lt_i32 s4, 2
	s_cbranch_scc1 .LBB9_1268
; %bb.1265:
	s_cmp_lt_i32 s4, 3
	s_cbranch_scc1 .LBB9_1269
; %bb.1266:
	s_cmp_gt_i32 s4, 3
	s_cbranch_scc0 .LBB9_1270
; %bb.1267:
	global_load_dwordx2 v[4:5], v[0:1], off
	s_mov_b64 s[0:1], 0
	s_waitcnt vmcnt(0)
	v_cvt_f64_i32_e32 v[11:12], v5
	v_cvt_f64_u32_e32 v[4:5], v4
	v_ldexp_f64 v[11:12], v[11:12], 32
	v_add_f64 v[4:5], v[11:12], v[4:5]
	s_branch .LBB9_1271
.LBB9_1268:
                                        ; implicit-def: $vgpr4_vgpr5
	s_branch .LBB9_1277
.LBB9_1269:
	s_mov_b64 s[0:1], -1
                                        ; implicit-def: $vgpr4_vgpr5
	s_branch .LBB9_1274
.LBB9_1270:
	s_mov_b64 s[0:1], -1
                                        ; implicit-def: $vgpr4_vgpr5
.LBB9_1271:
	s_andn2_b64 vcc, exec, s[0:1]
	s_cbranch_vccnz .LBB9_1273
; %bb.1272:
	global_load_dword v4, v[0:1], off
	s_waitcnt vmcnt(0)
	v_cvt_f64_i32_e32 v[4:5], v4
.LBB9_1273:
	s_mov_b64 s[0:1], 0
.LBB9_1274:
	s_andn2_b64 vcc, exec, s[0:1]
	s_cbranch_vccnz .LBB9_1276
; %bb.1275:
	global_load_sshort v4, v[0:1], off
	s_waitcnt vmcnt(0)
	v_cvt_f64_i32_e32 v[4:5], v4
.LBB9_1276:
	s_cbranch_execnz .LBB9_1282
.LBB9_1277:
	s_cmp_gt_i32 s4, 0
	s_cbranch_scc0 .LBB9_1279
; %bb.1278:
	global_load_sbyte v4, v[0:1], off
	s_mov_b64 s[0:1], 0
	s_waitcnt vmcnt(0)
	v_cvt_f64_i32_e32 v[4:5], v4
	s_branch .LBB9_1280
.LBB9_1279:
	s_mov_b64 s[0:1], -1
                                        ; implicit-def: $vgpr4_vgpr5
.LBB9_1280:
	s_andn2_b64 vcc, exec, s[0:1]
	s_cbranch_vccnz .LBB9_1282
; %bb.1281:
	global_load_ubyte v0, v[0:1], off
	s_waitcnt vmcnt(0)
	v_cvt_f64_u32_e32 v[4:5], v0
.LBB9_1282:
.LBB9_1283:
	s_mov_b32 s0, 0
	s_mov_b32 s1, 0x40200000
	s_waitcnt vmcnt(0)
	v_cmp_le_f64_e64 s[0:1], |v[4:5]|, s[0:1]
                                        ; implicit-def: $vgpr0_vgpr1
	s_and_saveexec_b64 s[4:5], s[0:1]
	s_xor_b64 s[0:1], exec, s[4:5]
	s_cbranch_execz .LBB9_1285
; %bb.1284:
	v_fma_f64 v[0:1], |v[4:5]|, 0.5, -2.0
	v_mov_b32_e32 v11, 0x977da589
	v_mov_b32_e32 v12, 0x3c833362
	s_mov_b32 s5, 0xbc545cb7
	s_mov_b32 s4, 0x2134d0ef
	;; [unrolled: 1-line block ×4, first 2 shown]
	v_mov_b32_e32 v19, 0xfca7ab0c
	v_fma_f64 v[11:12], v[0:1], s[4:5], v[11:12]
	s_mov_b32 s5, 0x3c545cb7
	v_mov_b32_e32 v20, 0x3e928af3
	v_fma_f64 v[15:16], v[0:1], v[11:12], s[4:5]
	s_mov_b32 s4, 0x721ebbb4
	s_mov_b32 s5, 0xbcb184eb
	v_add_f64 v[15:16], v[15:16], s[4:5]
	s_mov_b32 s4, 0x93f65eba
	s_mov_b32 s5, 0x3cdee6d8
	v_fma_f64 v[11:12], v[0:1], v[15:16], -v[11:12]
	v_add_f64 v[11:12], v[11:12], s[4:5]
	s_mov_b32 s4, 0xc297fbeb
	s_mov_b32 s5, 0xbd0a5022
	v_fma_f64 v[15:16], v[0:1], v[11:12], -v[15:16]
	;; [unrolled: 4-line block ×20, first 2 shown]
	v_add_f64 v[15:16], v[15:16], s[4:5]
	s_mov_b32 s4, 0x652b82fe
	s_mov_b32 s5, 0x3ff71547
	v_mul_f64 v[17:18], |v[4:5]|, s[4:5]
	s_mov_b32 s4, 0xf3dde3dd
	s_mov_b32 s5, 0x3f859961
	v_fma_f64 v[11:12], v[0:1], v[15:16], -v[11:12]
	v_rndne_f64_e32 v[17:18], v[17:18]
	v_add_f64 v[11:12], v[11:12], s[4:5]
	s_mov_b32 s4, 0xfefa39ef
	s_mov_b32 s5, 0xbfe62e42
	v_fma_f64 v[4:5], v[17:18], s[4:5], |v[4:5]|
	s_mov_b32 s4, 0xf121b6f0
	s_mov_b32 s5, 0xbf984e9e
	v_cvt_i32_f64_e32 v8, v[17:18]
	v_fma_f64 v[15:16], v[0:1], v[11:12], -v[15:16]
	v_fma_f64 v[4:5], v[17:18], s[6:7], v[4:5]
	s_mov_b32 s6, 0x623fde64
	s_mov_b32 s7, 0x3ec71dee
	v_add_f64 v[15:16], v[15:16], s[4:5]
	s_mov_b32 s4, 0x6a5dcb37
	s_mov_b32 s5, 0x3e5ade15
	v_fma_f64 v[19:20], v[4:5], s[4:5], v[19:20]
	s_mov_b32 s4, 0xcea8a32d
	s_mov_b32 s5, 0x3fa93e8a
	v_fma_f64 v[11:12], v[0:1], v[15:16], -v[11:12]
	v_fma_f64 v[19:20], v[4:5], v[19:20], s[6:7]
	s_mov_b32 s6, 0x14761f6e
	s_mov_b32 s7, 0x3f2a01a0
	v_add_f64 v[11:12], v[11:12], s[4:5]
	s_mov_b32 s4, 0x7c89e6b0
	s_mov_b32 s5, 0x3efa0199
	v_fma_f64 v[19:20], v[4:5], v[19:20], s[4:5]
	s_mov_b32 s4, 0x342d06ea
	s_mov_b32 s5, 0xbfb84b70
	;; [unrolled: 10-line block ×4, first 2 shown]
	v_fma_f64 v[15:16], v[0:1], v[11:12], -v[15:16]
	v_fma_f64 v[19:20], v[4:5], v[19:20], s[6:7]
	v_add_f64 v[15:16], v[15:16], s[4:5]
	s_mov_b32 s4, 11
	s_mov_b32 s5, 0x3fe00000
	v_fma_f64 v[19:20], v[4:5], v[19:20], s[4:5]
	s_mov_b32 s4, 0x9035a22a
	s_mov_b32 s5, 0x3fe5a84e
	v_fma_f64 v[0:1], v[0:1], v[15:16], -v[11:12]
	v_fma_f64 v[15:16], v[4:5], v[19:20], 1.0
	v_add_f64 v[0:1], v[0:1], s[4:5]
	v_fma_f64 v[4:5], v[4:5], v[15:16], 1.0
	v_add_f64 v[0:1], v[0:1], -v[11:12]
	v_ldexp_f64 v[4:5], v[4:5], v8
	v_mul_f64 v[0:1], v[0:1], 0.5
	v_mul_f64 v[0:1], v[4:5], v[0:1]
                                        ; implicit-def: $vgpr4_vgpr5
.LBB9_1285:
	s_andn2_saveexec_b64 s[4:5], s[0:1]
	s_cbranch_execz .LBB9_1287
; %bb.1286:
	s_mov_b32 s0, 0
	v_and_b32_e32 v1, 0x7fffffff, v5
	v_mov_b32_e32 v0, v4
	s_mov_b32 s1, 0x40400000
	v_div_scale_f64 v[11:12], s[6:7], v[0:1], v[0:1], s[0:1]
	v_div_scale_f64 v[0:1], vcc, s[0:1], v[0:1], s[0:1]
	s_mov_b32 s6, 0x3b39803f
	s_mov_b32 s7, 0xbc7abc9e
	v_mov_b32_e32 v21, 0xfca7ab0c
	v_mov_b32_e32 v22, 0x3e928af3
	s_mov_b32 s12, 0x623fde64
	s_mov_b32 s13, 0x3ec71dee
	v_mov_b32_e32 v8, 0x100
	v_mov_b32_e32 v13, 0x7ff00000
	v_rcp_f64_e32 v[15:16], v[11:12]
	v_fma_f64 v[17:18], -v[11:12], v[15:16], 1.0
	v_fma_f64 v[15:16], v[15:16], v[17:18], v[15:16]
	v_fma_f64 v[17:18], -v[11:12], v[15:16], 1.0
	v_fma_f64 v[15:16], v[15:16], v[17:18], v[15:16]
	v_mul_f64 v[17:18], v[0:1], v[15:16]
	v_fma_f64 v[0:1], -v[11:12], v[17:18], v[0:1]
	v_mov_b32_e32 v11, 0x66119130
	v_mov_b32_e32 v12, 0xbc5646da
	v_div_fmas_f64 v[0:1], v[0:1], v[15:16], v[17:18]
	v_div_fixup_f64 v[0:1], v[0:1], |v[4:5]|, s[0:1]
	s_mov_b32 s1, 0xbc60adb7
	s_mov_b32 s0, 0x54ca8b19
	v_add_f64 v[0:1], v[0:1], -2.0
	v_fma_f64 v[11:12], v[0:1], s[0:1], v[11:12]
	s_mov_b32 s1, 0x3c60adb7
	v_fma_f64 v[15:16], v[0:1], v[11:12], s[0:1]
	s_mov_b32 s0, 0x12d98421
	s_mov_b32 s1, 0x3c89be18
	v_add_f64 v[15:16], v[15:16], s[0:1]
	s_mov_b32 s0, 0x76041cd
	s_mov_b32 s1, 0x3c83f3dd
	v_fma_f64 v[11:12], v[0:1], v[15:16], -v[11:12]
	v_add_f64 v[11:12], v[11:12], s[0:1]
	s_mov_b32 s0, 0xabd21fe4
	s_mov_b32 s1, 0xbcb4600b
	v_fma_f64 v[15:16], v[0:1], v[11:12], -v[15:16]
	;; [unrolled: 4-line block ×15, first 2 shown]
	v_add_f64 v[15:16], v[15:16], s[0:1]
	s_mov_b32 s0, 0x652b82fe
	s_mov_b32 s1, 0x3ff71547
	v_mul_f64 v[17:18], |v[4:5]|, s[0:1]
	s_mov_b32 s0, 0xa9225b87
	s_mov_b32 s1, 0x3e2d2c64
	v_fma_f64 v[11:12], v[0:1], v[15:16], -v[11:12]
	v_rndne_f64_e32 v[17:18], v[17:18]
	v_add_f64 v[11:12], v[11:12], s[0:1]
	s_mov_b32 s0, 0xfefa39ef
	s_mov_b32 s1, 0xbfe62e42
	v_fma_f64 v[19:20], v[17:18], s[0:1], |v[4:5]|
	s_mov_b32 s0, 0x80d6d56d
	s_mov_b32 s1, 0x3e585692
	v_fma_f64 v[15:16], v[0:1], v[11:12], -v[15:16]
	v_fma_f64 v[19:20], v[17:18], s[6:7], v[19:20]
	s_mov_b32 s6, 0xd9cd616e
	s_mov_b32 s7, 0x3e8b8007
	v_add_f64 v[15:16], v[15:16], s[0:1]
	s_mov_b32 s0, 0x6a5dcb37
	s_mov_b32 s1, 0x3e5ade15
	v_fma_f64 v[21:22], v[19:20], s[0:1], v[21:22]
	s_mov_b32 s0, 0
	s_brev_b32 s1, 8
	v_cmp_lt_f64_e64 vcc, |v[4:5]|, s[0:1]
	s_mov_b32 s0, 0x7c89e6b0
	v_fma_f64 v[11:12], v[0:1], v[15:16], -v[11:12]
	s_mov_b32 s1, 0x3efa0199
	v_fma_f64 v[21:22], v[19:20], v[21:22], s[12:13]
	v_cndmask_b32_e32 v8, 0, v8, vcc
	v_ldexp_f64 v[23:24], |v[4:5]|, v8
	v_add_f64 v[11:12], v[11:12], s[6:7]
	s_mov_b32 s6, 0x14761f6e
	s_mov_b32 s7, 0x3f2a01a0
	v_fma_f64 v[21:22], v[19:20], v[21:22], s[0:1]
	s_mov_b32 s0, 0xc101c586
	s_mov_b32 s1, 0x3ec8412b
	v_cvt_i32_f64_e32 v8, v[17:18]
	v_rsq_f64_e32 v[25:26], v[23:24]
	v_fma_f64 v[15:16], v[0:1], v[11:12], -v[15:16]
	v_fma_f64 v[21:22], v[19:20], v[21:22], s[6:7]
	s_mov_b32 s6, 0x11122322
	s_mov_b32 s7, 0x3f811111
	v_add_f64 v[15:16], v[15:16], s[0:1]
	s_mov_b32 s0, 0x1852b7b0
	s_mov_b32 s1, 0x3f56c16c
	v_fma_f64 v[21:22], v[19:20], v[21:22], s[0:1]
	s_mov_b32 s0, 0x78999e52
	s_mov_b32 s1, 0x3f120fa3
	v_mul_f64 v[27:28], v[23:24], v[25:26]
	v_fma_f64 v[11:12], v[0:1], v[15:16], -v[11:12]
	v_mul_f64 v[25:26], v[25:26], 0.5
	v_fma_f64 v[21:22], v[19:20], v[21:22], s[6:7]
	s_mov_b32 s6, 0x55555511
	s_mov_b32 s7, 0x3fc55555
	v_add_f64 v[11:12], v[11:12], s[0:1]
	s_mov_b32 s0, 0x555502a1
	s_mov_b32 s1, 0x3fa55555
	v_fma_f64 v[29:30], -v[25:26], v[27:28], 0.5
	v_fma_f64 v[21:22], v[19:20], v[21:22], s[0:1]
	s_mov_b32 s0, 0xa2e59049
	s_mov_b32 s1, 0x3f6b998c
	v_fma_f64 v[15:16], v[0:1], v[11:12], -v[15:16]
	v_fma_f64 v[27:28], v[27:28], v[29:30], v[27:28]
	v_fma_f64 v[21:22], v[19:20], v[21:22], s[6:7]
	;; [unrolled: 1-line block ×3, first 2 shown]
	v_add_f64 v[15:16], v[15:16], s[0:1]
	s_mov_b32 s0, 11
	s_mov_b32 s1, 0x3fe00000
	v_fma_f64 v[29:30], -v[27:28], v[27:28], v[23:24]
	v_fma_f64 v[21:22], v[19:20], v[21:22], s[0:1]
	s_mov_b32 s0, 0xaca809cb
	s_mov_b32 s1, 0x3fe9be62
	v_fma_f64 v[0:1], v[0:1], v[15:16], -v[11:12]
	v_fma_f64 v[15:16], v[29:30], v[25:26], v[27:28]
	v_fma_f64 v[21:22], v[19:20], v[21:22], 1.0
	v_add_f64 v[0:1], v[0:1], s[0:1]
	s_mov_b32 s0, 0
	s_mov_b32 s1, 0x40900000
	v_fma_f64 v[27:28], -v[15:16], v[15:16], v[23:24]
	v_fma_f64 v[19:20], v[19:20], v[21:22], 1.0
	v_cmp_ngt_f64_e64 s[0:1], |v[4:5]|, s[0:1]
	v_mov_b32_e32 v4, 0xffffff80
	v_cndmask_b32_e32 v4, 0, v4, vcc
	v_add_f64 v[0:1], v[0:1], -v[11:12]
	v_fma_f64 v[11:12], v[27:28], v[25:26], v[15:16]
	v_ldexp_f64 v[15:16], v[19:20], v8
	v_mov_b32_e32 v8, 0x260
	v_cmp_class_f64_e32 vcc, v[23:24], v8
	v_mul_f64 v[0:1], v[0:1], 0.5
	v_ldexp_f64 v[4:5], v[11:12], v4
	v_cndmask_b32_e64 v12, v13, v16, s[0:1]
	v_cndmask_b32_e64 v11, 0, v15, s[0:1]
	v_mul_f64 v[0:1], v[11:12], v[0:1]
	v_cndmask_b32_e32 v5, v5, v24, vcc
	v_cndmask_b32_e32 v4, v4, v23, vcc
	v_div_scale_f64 v[11:12], s[0:1], v[4:5], v[4:5], v[0:1]
	v_div_scale_f64 v[19:20], vcc, v[0:1], v[4:5], v[0:1]
	v_rcp_f64_e32 v[15:16], v[11:12]
	v_fma_f64 v[17:18], -v[11:12], v[15:16], 1.0
	v_fma_f64 v[15:16], v[15:16], v[17:18], v[15:16]
	v_fma_f64 v[17:18], -v[11:12], v[15:16], 1.0
	v_fma_f64 v[15:16], v[15:16], v[17:18], v[15:16]
	v_mul_f64 v[17:18], v[19:20], v[15:16]
	v_fma_f64 v[11:12], -v[11:12], v[17:18], v[19:20]
	v_div_fmas_f64 v[11:12], v[11:12], v[15:16], v[17:18]
	v_div_fixup_f64 v[0:1], v[11:12], v[4:5], v[0:1]
.LBB9_1287:
	s_or_b64 exec, exec, s[4:5]
	s_lshr_b32 s0, s16, 16
	v_mov_b32_e32 v5, s11
	s_and_b32 s17, s0, 0xff
	v_add_co_u32_e32 v4, vcc, s10, v9
	s_cmp_lt_i32 s17, 11
	v_addc_co_u32_e32 v5, vcc, 0, v5, vcc
	s_cbranch_scc1 .LBB9_1294
; %bb.1288:
	s_and_b32 s18, 0xffff, s17
	s_cmp_gt_i32 s18, 25
	s_mov_b64 s[4:5], 0
	s_cbranch_scc0 .LBB9_1296
; %bb.1289:
	s_cmp_gt_i32 s18, 28
	s_cbranch_scc0 .LBB9_1297
; %bb.1290:
	s_cmp_gt_i32 s18, 43
	;; [unrolled: 3-line block ×3, first 2 shown]
	s_cbranch_scc0 .LBB9_1300
; %bb.1292:
	s_cmp_eq_u32 s18, 46
	s_mov_b64 s[12:13], 0
	s_cbranch_scc0 .LBB9_1303
; %bb.1293:
	global_load_dword v8, v[4:5], off
	s_mov_b64 s[0:1], 0
	s_mov_b64 s[6:7], -1
	s_waitcnt vmcnt(0)
	v_lshlrev_b32_e32 v8, 16, v8
	v_cvt_f64_f32_e32 v[8:9], v8
	s_branch .LBB9_1304
.LBB9_1294:
	s_mov_b64 s[6:7], 0
                                        ; implicit-def: $vgpr8_vgpr9
	s_cbranch_execnz .LBB9_1369
.LBB9_1295:
	s_andn2_b64 vcc, exec, s[6:7]
	s_cbranch_vccnz .LBB9_1765
	s_branch .LBB9_1416
.LBB9_1296:
	s_mov_b64 s[6:7], 0
	s_mov_b64 s[0:1], 0
                                        ; implicit-def: $vgpr8_vgpr9
	s_cbranch_execnz .LBB9_1335
	s_branch .LBB9_1365
.LBB9_1297:
	s_mov_b64 s[12:13], -1
	s_mov_b64 s[6:7], 0
	s_mov_b64 s[0:1], 0
                                        ; implicit-def: $vgpr8_vgpr9
	s_branch .LBB9_1314
.LBB9_1298:
	s_mov_b64 s[12:13], -1
	s_mov_b64 s[6:7], 0
	s_mov_b64 s[0:1], 0
                                        ; implicit-def: $vgpr8_vgpr9
	s_branch .LBB9_1309
.LBB9_1299:
	s_or_b64 s[2:3], s[28:29], exec
	s_trap 2
	s_cbranch_execz .LBB9_1236
	s_branch .LBB9_1237
.LBB9_1300:
	s_mov_b64 s[12:13], -1
	s_mov_b64 s[6:7], 0
	s_mov_b64 s[0:1], 0
                                        ; implicit-def: $vgpr8_vgpr9
	s_branch .LBB9_1304
.LBB9_1301:
	s_andn2_saveexec_b64 s[16:17], s[16:17]
	s_cbranch_execz .LBB9_1027
.LBB9_1302:
	s_mov_b32 s20, 0x42800000
	v_add_f32_e64 v3, |v2|, s20
	v_and_b32_e32 v3, 0xff, v3
	v_cmp_ne_u32_e32 vcc, 0, v3
	s_andn2_b64 s[14:15], s[14:15], exec
	s_and_b64 s[20:21], vcc, exec
	s_or_b64 s[14:15], s[14:15], s[20:21]
	s_or_b64 exec, exec, s[16:17]
	v_mov_b32_e32 v4, 0
	s_and_saveexec_b64 s[16:17], s[14:15]
	s_cbranch_execnz .LBB9_1028
	s_branch .LBB9_1029
.LBB9_1303:
	s_mov_b64 s[0:1], -1
                                        ; implicit-def: $vgpr8_vgpr9
	s_mov_b64 s[6:7], 0
.LBB9_1304:
	s_and_b64 vcc, exec, s[12:13]
	s_cbranch_vccz .LBB9_1308
; %bb.1305:
	s_cmp_eq_u32 s18, 44
	s_cbranch_scc0 .LBB9_1307
; %bb.1306:
	global_load_ubyte v11, v[4:5], off
	s_movk_i32 s6, 0xff
	v_bfrev_b32_e32 v12, 4
	v_mov_b32_e32 v13, 0x7ff80000
	v_bfrev_b32_e32 v15, 28
	s_mov_b64 s[0:1], 0
	s_waitcnt vmcnt(0)
	v_lshlrev_b32_e32 v8, 23, v11
	v_cvt_f64_f32_e32 v[8:9], v8
	v_cmp_ne_u32_e32 vcc, s6, v11
	s_mov_b64 s[6:7], -1
	v_cndmask_b32_e32 v8, v12, v8, vcc
	v_cndmask_b32_e32 v9, v13, v9, vcc
	v_cmp_ne_u32_e32 vcc, 0, v11
	v_cndmask_b32_e32 v9, v15, v9, vcc
	v_cndmask_b32_e32 v8, 0, v8, vcc
	s_branch .LBB9_1308
.LBB9_1307:
	s_mov_b64 s[0:1], -1
                                        ; implicit-def: $vgpr8_vgpr9
.LBB9_1308:
	s_mov_b64 s[12:13], 0
.LBB9_1309:
	s_and_b64 vcc, exec, s[12:13]
	s_cbranch_vccz .LBB9_1313
; %bb.1310:
	s_cmp_eq_u32 s18, 29
	s_cbranch_scc0 .LBB9_1312
; %bb.1311:
	global_load_dwordx2 v[8:9], v[4:5], off
	s_mov_b64 s[0:1], 0
	s_mov_b64 s[6:7], -1
	s_mov_b64 s[12:13], 0
	s_waitcnt vmcnt(0)
	v_cvt_f64_u32_e32 v[11:12], v9
	v_cvt_f64_u32_e32 v[8:9], v8
	v_ldexp_f64 v[11:12], v[11:12], 32
	v_add_f64 v[8:9], v[11:12], v[8:9]
	s_branch .LBB9_1314
.LBB9_1312:
	s_mov_b64 s[0:1], -1
                                        ; implicit-def: $vgpr8_vgpr9
.LBB9_1313:
	s_mov_b64 s[12:13], 0
.LBB9_1314:
	s_and_b64 vcc, exec, s[12:13]
	s_cbranch_vccz .LBB9_1334
; %bb.1315:
	s_cmp_lt_i32 s18, 27
	s_cbranch_scc1 .LBB9_1318
; %bb.1316:
	s_cmp_gt_i32 s18, 27
	s_cbranch_scc0 .LBB9_1319
; %bb.1317:
	global_load_dword v8, v[4:5], off
	s_mov_b64 s[6:7], 0
	s_waitcnt vmcnt(0)
	v_cvt_f64_u32_e32 v[8:9], v8
	s_branch .LBB9_1320
.LBB9_1318:
	s_mov_b64 s[6:7], -1
                                        ; implicit-def: $vgpr8_vgpr9
	s_branch .LBB9_1323
.LBB9_1319:
	s_mov_b64 s[6:7], -1
                                        ; implicit-def: $vgpr8_vgpr9
.LBB9_1320:
	s_andn2_b64 vcc, exec, s[6:7]
	s_cbranch_vccnz .LBB9_1322
; %bb.1321:
	global_load_ushort v8, v[4:5], off
	s_waitcnt vmcnt(0)
	v_cvt_f64_u32_e32 v[8:9], v8
.LBB9_1322:
	s_mov_b64 s[6:7], 0
.LBB9_1323:
	s_andn2_b64 vcc, exec, s[6:7]
	s_cbranch_vccnz .LBB9_1333
; %bb.1324:
	global_load_ubyte v11, v[4:5], off
	s_movk_i32 s6, 0x7f
	s_waitcnt vmcnt(0)
	v_cmp_lt_i16_e32 vcc, s6, v11
	s_mov_b64 s[6:7], 0
	s_and_saveexec_b64 s[12:13], vcc
	s_xor_b64 s[12:13], exec, s[12:13]
	s_cbranch_execz .LBB9_1328
; %bb.1325:
	s_movk_i32 s6, 0x80
	v_cmp_eq_u16_e32 vcc, s6, v11
	s_mov_b64 s[6:7], -1
	s_and_saveexec_b64 s[14:15], vcc
; %bb.1326:
	s_xor_b64 s[6:7], exec, -1
; %bb.1327:
	s_or_b64 exec, exec, s[14:15]
	s_and_b64 s[6:7], s[6:7], exec
.LBB9_1328:
	s_or_saveexec_b64 s[12:13], s[12:13]
	v_bfrev_b32_e32 v8, 4
	v_mov_b32_e32 v9, 0x7ff80000
	s_xor_b64 exec, exec, s[12:13]
; %bb.1329:
	v_cmp_ne_u16_e32 vcc, 0, v11
	v_mov_b32_e32 v8, 0
	s_andn2_b64 s[6:7], s[6:7], exec
	s_and_b64 s[14:15], vcc, exec
	v_mov_b32_e32 v9, 0
	s_or_b64 s[6:7], s[6:7], s[14:15]
; %bb.1330:
	s_or_b64 exec, exec, s[12:13]
	s_and_saveexec_b64 s[12:13], s[6:7]
	s_cbranch_execz .LBB9_1332
; %bb.1331:
	v_and_b32_e32 v9, 0xffff, v11
	v_lshlrev_b32_e32 v8, 24, v11
	v_and_b32_e32 v11, 7, v9
	v_ffbh_u32_e32 v13, v11
	v_min_u32_e32 v13, 32, v13
	v_subrev_u32_e32 v15, 28, v13
	v_bfe_u32 v12, v9, 3, 4
	v_lshlrev_b32_e32 v9, v15, v9
	v_sub_u32_e32 v13, 29, v13
	v_and_b32_e32 v9, 7, v9
	v_cmp_eq_u32_e32 vcc, 0, v12
	v_cndmask_b32_e32 v12, v12, v13, vcc
	v_cndmask_b32_e32 v9, v11, v9, vcc
	v_mov_b32_e32 v11, 0x3b800000
	v_lshlrev_b32_e32 v9, 20, v9
	v_and_b32_e32 v8, 0x80000000, v8
	v_lshl_add_u32 v11, v12, 23, v11
	v_or3_b32 v8, v8, v11, v9
	v_cvt_f64_f32_e32 v[8:9], v8
.LBB9_1332:
	s_or_b64 exec, exec, s[12:13]
.LBB9_1333:
	s_mov_b64 s[6:7], -1
.LBB9_1334:
	s_branch .LBB9_1365
.LBB9_1335:
	s_cmp_gt_i32 s18, 22
	s_cbranch_scc0 .LBB9_1347
; %bb.1336:
	s_cmp_lt_i32 s18, 24
	s_cbranch_scc1 .LBB9_1348
; %bb.1337:
	s_cmp_gt_i32 s18, 24
	s_cbranch_scc0 .LBB9_1349
; %bb.1338:
	global_load_ubyte v11, v[4:5], off
	s_movk_i32 s4, 0x7f
	s_waitcnt vmcnt(0)
	v_cmp_lt_i16_e32 vcc, s4, v11
	s_mov_b64 s[4:5], 0
	s_and_saveexec_b64 s[6:7], vcc
	s_xor_b64 s[6:7], exec, s[6:7]
	s_cbranch_execz .LBB9_1342
; %bb.1339:
	s_movk_i32 s4, 0x80
	v_cmp_eq_u16_e32 vcc, s4, v11
	s_mov_b64 s[4:5], -1
	s_and_saveexec_b64 s[12:13], vcc
; %bb.1340:
	s_xor_b64 s[4:5], exec, -1
; %bb.1341:
	s_or_b64 exec, exec, s[12:13]
	s_and_b64 s[4:5], s[4:5], exec
.LBB9_1342:
	s_or_saveexec_b64 s[6:7], s[6:7]
	v_bfrev_b32_e32 v8, 4
	v_mov_b32_e32 v9, 0x7ff80000
	s_xor_b64 exec, exec, s[6:7]
; %bb.1343:
	v_cmp_ne_u16_e32 vcc, 0, v11
	v_mov_b32_e32 v8, 0
	s_andn2_b64 s[4:5], s[4:5], exec
	s_and_b64 s[12:13], vcc, exec
	v_mov_b32_e32 v9, 0
	s_or_b64 s[4:5], s[4:5], s[12:13]
; %bb.1344:
	s_or_b64 exec, exec, s[6:7]
	s_and_saveexec_b64 s[6:7], s[4:5]
	s_cbranch_execz .LBB9_1346
; %bb.1345:
	v_and_b32_e32 v9, 0xffff, v11
	v_lshlrev_b32_e32 v8, 24, v11
	v_and_b32_e32 v11, 3, v9
	v_ffbh_u32_e32 v13, v11
	v_min_u32_e32 v13, 32, v13
	v_subrev_u32_e32 v15, 29, v13
	v_bfe_u32 v12, v9, 2, 5
	v_lshlrev_b32_e32 v9, v15, v9
	v_sub_u32_e32 v13, 30, v13
	v_and_b32_e32 v9, 3, v9
	v_cmp_eq_u32_e32 vcc, 0, v12
	v_cndmask_b32_e32 v12, v12, v13, vcc
	v_cndmask_b32_e32 v9, v11, v9, vcc
	v_mov_b32_e32 v11, 0x37800000
	v_lshlrev_b32_e32 v9, 21, v9
	v_and_b32_e32 v8, 0x80000000, v8
	v_lshl_add_u32 v11, v12, 23, v11
	v_or3_b32 v8, v8, v11, v9
	v_cvt_f64_f32_e32 v[8:9], v8
.LBB9_1346:
	s_or_b64 exec, exec, s[6:7]
	s_mov_b64 s[4:5], 0
	s_branch .LBB9_1350
.LBB9_1347:
	s_mov_b64 s[4:5], -1
                                        ; implicit-def: $vgpr8_vgpr9
	s_branch .LBB9_1356
.LBB9_1348:
	s_mov_b64 s[4:5], -1
                                        ; implicit-def: $vgpr8_vgpr9
	s_branch .LBB9_1353
.LBB9_1349:
	s_mov_b64 s[4:5], -1
                                        ; implicit-def: $vgpr8_vgpr9
.LBB9_1350:
	s_and_b64 vcc, exec, s[4:5]
	s_cbranch_vccz .LBB9_1352
; %bb.1351:
	global_load_ubyte v8, v[4:5], off
	s_mov_b32 s4, 0x7f800000
	s_waitcnt vmcnt(0)
	v_lshlrev_b32_e32 v8, 24, v8
	v_and_b32_e32 v9, 0x7f000000, v8
	v_ffbh_u32_e32 v11, v9
	v_min_u32_e32 v11, 32, v11
	v_sub_u32_e64 v11, v11, 4 clamp
	v_lshlrev_b32_e32 v13, v11, v9
	v_lshlrev_b32_e32 v11, 23, v11
	v_lshrrev_b32_e32 v13, 4, v13
	v_add_u32_e32 v12, 0x1000000, v9
	v_sub_u32_e32 v11, v13, v11
	v_ashrrev_i32_e32 v12, 8, v12
	v_add_u32_e32 v11, 0x3c000000, v11
	v_and_or_b32 v11, v12, s4, v11
	v_cmp_ne_u32_e32 vcc, 0, v9
	v_cndmask_b32_e32 v9, 0, v11, vcc
	s_brev_b32 s4, 1
	v_and_or_b32 v8, v8, s4, v9
	v_cvt_f64_f32_e32 v[8:9], v8
.LBB9_1352:
	s_mov_b64 s[4:5], 0
.LBB9_1353:
	s_andn2_b64 vcc, exec, s[4:5]
	s_cbranch_vccnz .LBB9_1355
; %bb.1354:
	global_load_ubyte v8, v[4:5], off
	s_movk_i32 s4, 0x7f00
	s_brev_b32 s5, 16
	s_waitcnt vmcnt(0)
	v_lshlrev_b16_e32 v9, 8, v8
	v_lshlrev_b32_e32 v8, 25, v8
	v_lshrrev_b32_e32 v11, 4, v8
	v_and_or_b32 v12, v9, s4, 0.5
	v_or_b32_e32 v11, 0x70000000, v11
	v_add_f32_e32 v12, -0.5, v12
	v_mul_f32_e32 v11, 0x7800000, v11
	v_cmp_gt_u32_e32 vcc, s5, v8
	v_bfe_i32 v9, v9, 0, 16
	v_cndmask_b32_e32 v8, v11, v12, vcc
	s_brev_b32 s4, 1
	v_and_or_b32 v8, v9, s4, v8
	v_cvt_f64_f32_e32 v[8:9], v8
.LBB9_1355:
	s_mov_b64 s[4:5], 0
	s_mov_b64 s[6:7], -1
.LBB9_1356:
	s_andn2_b64 vcc, exec, s[4:5]
	s_mov_b64 s[4:5], 0
	s_cbranch_vccnz .LBB9_1365
; %bb.1357:
	s_cmp_gt_i32 s18, 14
	s_cbranch_scc0 .LBB9_1360
; %bb.1358:
	s_cmp_eq_u32 s18, 15
	s_cbranch_scc0 .LBB9_1361
; %bb.1359:
	global_load_ushort v8, v[4:5], off
	s_mov_b64 s[0:1], 0
	s_mov_b64 s[6:7], -1
	s_waitcnt vmcnt(0)
	v_lshlrev_b32_e32 v8, 16, v8
	v_cvt_f64_f32_e32 v[8:9], v8
	s_branch .LBB9_1362
.LBB9_1360:
	s_mov_b64 s[12:13], -1
                                        ; implicit-def: $vgpr8_vgpr9
	s_branch .LBB9_1363
.LBB9_1361:
	s_mov_b64 s[0:1], -1
                                        ; implicit-def: $vgpr8_vgpr9
.LBB9_1362:
	s_mov_b64 s[12:13], 0
.LBB9_1363:
	s_and_b64 vcc, exec, s[12:13]
	s_cbranch_vccz .LBB9_1365
; %bb.1364:
	s_cmp_lg_u32 s18, 11
	s_mov_b64 s[4:5], -1
	s_cselect_b64 s[0:1], -1, 0
.LBB9_1365:
	s_and_b64 vcc, exec, s[0:1]
	s_cbranch_vccnz .LBB9_1432
; %bb.1366:
	s_andn2_b64 vcc, exec, s[4:5]
	s_cbranch_vccnz .LBB9_1368
.LBB9_1367:
	global_load_ubyte v9, v[4:5], off
	v_mov_b32_e32 v11, 0x3ff00000
	v_mov_b32_e32 v8, 0
	s_mov_b64 s[6:7], -1
	s_waitcnt vmcnt(0)
	v_cmp_ne_u16_e32 vcc, 0, v9
	v_cndmask_b32_e32 v9, 0, v11, vcc
.LBB9_1368:
	s_branch .LBB9_1295
.LBB9_1369:
	s_and_b32 s4, 0xffff, s17
	s_cmp_lt_i32 s4, 5
	s_cbranch_scc1 .LBB9_1374
; %bb.1370:
	s_cmp_lt_i32 s4, 8
	s_cbranch_scc1 .LBB9_1375
; %bb.1371:
	;; [unrolled: 3-line block ×3, first 2 shown]
	s_cmp_gt_i32 s4, 9
	s_cbranch_scc0 .LBB9_1377
; %bb.1373:
	global_load_dwordx2 v[8:9], v[4:5], off
	s_mov_b64 s[0:1], 0
	s_branch .LBB9_1378
.LBB9_1374:
                                        ; implicit-def: $vgpr8_vgpr9
	s_branch .LBB9_1396
.LBB9_1375:
	s_mov_b64 s[0:1], -1
                                        ; implicit-def: $vgpr8_vgpr9
	s_branch .LBB9_1384
.LBB9_1376:
	s_mov_b64 s[0:1], -1
                                        ; implicit-def: $vgpr8_vgpr9
	s_branch .LBB9_1381
.LBB9_1377:
	s_mov_b64 s[0:1], -1
                                        ; implicit-def: $vgpr8_vgpr9
.LBB9_1378:
	s_andn2_b64 vcc, exec, s[0:1]
	s_cbranch_vccnz .LBB9_1380
; %bb.1379:
	global_load_dword v8, v[4:5], off
	s_waitcnt vmcnt(0)
	v_cvt_f64_f32_e32 v[8:9], v8
.LBB9_1380:
	s_mov_b64 s[0:1], 0
.LBB9_1381:
	s_andn2_b64 vcc, exec, s[0:1]
	s_cbranch_vccnz .LBB9_1383
; %bb.1382:
	global_load_dword v8, v[4:5], off
	s_waitcnt vmcnt(0)
	v_cvt_f32_f16_e32 v8, v8
	v_cvt_f64_f32_e32 v[8:9], v8
.LBB9_1383:
	s_mov_b64 s[0:1], 0
.LBB9_1384:
	s_andn2_b64 vcc, exec, s[0:1]
	s_cbranch_vccnz .LBB9_1395
; %bb.1385:
	s_cmp_lt_i32 s4, 6
	s_cbranch_scc1 .LBB9_1388
; %bb.1386:
	s_cmp_gt_i32 s4, 6
	s_cbranch_scc0 .LBB9_1389
; %bb.1387:
	global_load_dwordx2 v[8:9], v[4:5], off
	s_mov_b64 s[0:1], 0
	s_branch .LBB9_1390
.LBB9_1388:
	s_mov_b64 s[0:1], -1
                                        ; implicit-def: $vgpr8_vgpr9
	s_branch .LBB9_1393
.LBB9_1389:
	s_mov_b64 s[0:1], -1
                                        ; implicit-def: $vgpr8_vgpr9
.LBB9_1390:
	s_andn2_b64 vcc, exec, s[0:1]
	s_cbranch_vccnz .LBB9_1392
; %bb.1391:
	global_load_dword v8, v[4:5], off
	s_waitcnt vmcnt(0)
	v_cvt_f64_f32_e32 v[8:9], v8
.LBB9_1392:
	s_mov_b64 s[0:1], 0
.LBB9_1393:
	s_andn2_b64 vcc, exec, s[0:1]
	s_cbranch_vccnz .LBB9_1395
; %bb.1394:
	global_load_ushort v8, v[4:5], off
	s_waitcnt vmcnt(0)
	v_cvt_f32_f16_e32 v8, v8
	v_cvt_f64_f32_e32 v[8:9], v8
.LBB9_1395:
	s_cbranch_execnz .LBB9_1415
.LBB9_1396:
	s_cmp_lt_i32 s4, 2
	s_cbranch_scc1 .LBB9_1400
; %bb.1397:
	s_cmp_lt_i32 s4, 3
	s_cbranch_scc1 .LBB9_1401
; %bb.1398:
	s_cmp_gt_i32 s4, 3
	s_cbranch_scc0 .LBB9_1402
; %bb.1399:
	global_load_dwordx2 v[8:9], v[4:5], off
	s_mov_b64 s[0:1], 0
	s_waitcnt vmcnt(0)
	v_cvt_f64_i32_e32 v[11:12], v9
	v_cvt_f64_u32_e32 v[8:9], v8
	v_ldexp_f64 v[11:12], v[11:12], 32
	v_add_f64 v[8:9], v[11:12], v[8:9]
	s_branch .LBB9_1403
.LBB9_1400:
	s_mov_b64 s[0:1], -1
                                        ; implicit-def: $vgpr8_vgpr9
	s_branch .LBB9_1409
.LBB9_1401:
	s_mov_b64 s[0:1], -1
                                        ; implicit-def: $vgpr8_vgpr9
	s_branch .LBB9_1406
.LBB9_1402:
	s_mov_b64 s[0:1], -1
                                        ; implicit-def: $vgpr8_vgpr9
.LBB9_1403:
	s_andn2_b64 vcc, exec, s[0:1]
	s_cbranch_vccnz .LBB9_1405
; %bb.1404:
	global_load_dword v8, v[4:5], off
	s_waitcnt vmcnt(0)
	v_cvt_f64_i32_e32 v[8:9], v8
.LBB9_1405:
	s_mov_b64 s[0:1], 0
.LBB9_1406:
	s_andn2_b64 vcc, exec, s[0:1]
	s_cbranch_vccnz .LBB9_1408
; %bb.1407:
	global_load_sshort v8, v[4:5], off
	s_waitcnt vmcnt(0)
	v_cvt_f64_i32_e32 v[8:9], v8
.LBB9_1408:
	s_mov_b64 s[0:1], 0
.LBB9_1409:
	s_andn2_b64 vcc, exec, s[0:1]
	s_cbranch_vccnz .LBB9_1415
; %bb.1410:
	s_cmp_gt_i32 s4, 0
	s_cbranch_scc0 .LBB9_1412
; %bb.1411:
	global_load_sbyte v8, v[4:5], off
	s_mov_b64 s[0:1], 0
	s_waitcnt vmcnt(0)
	v_cvt_f64_i32_e32 v[8:9], v8
	s_branch .LBB9_1413
.LBB9_1412:
	s_mov_b64 s[0:1], -1
                                        ; implicit-def: $vgpr8_vgpr9
.LBB9_1413:
	s_andn2_b64 vcc, exec, s[0:1]
	s_cbranch_vccnz .LBB9_1415
; %bb.1414:
	global_load_ubyte v4, v[4:5], off
	s_waitcnt vmcnt(0)
	v_cvt_f64_u32_e32 v[8:9], v4
.LBB9_1415:
.LBB9_1416:
	s_mov_b32 s0, 0
	s_mov_b32 s1, 0x40200000
	s_waitcnt vmcnt(0)
	v_cmp_le_f64_e64 s[0:1], |v[8:9]|, s[0:1]
                                        ; implicit-def: $vgpr4_vgpr5
	s_and_saveexec_b64 s[4:5], s[0:1]
	s_xor_b64 s[0:1], exec, s[4:5]
	s_cbranch_execz .LBB9_1418
; %bb.1417:
	v_fma_f64 v[4:5], |v[8:9]|, 0.5, -2.0
	v_mov_b32_e32 v11, 0x977da589
	v_mov_b32_e32 v12, 0x3c833362
	s_mov_b32 s5, 0xbc545cb7
	s_mov_b32 s4, 0x2134d0ef
	;; [unrolled: 1-line block ×4, first 2 shown]
	v_mov_b32_e32 v19, 0xfca7ab0c
	v_fma_f64 v[11:12], v[4:5], s[4:5], v[11:12]
	s_mov_b32 s5, 0x3c545cb7
	v_mov_b32_e32 v20, 0x3e928af3
	v_fma_f64 v[15:16], v[4:5], v[11:12], s[4:5]
	s_mov_b32 s4, 0x721ebbb4
	s_mov_b32 s5, 0xbcb184eb
	v_add_f64 v[15:16], v[15:16], s[4:5]
	s_mov_b32 s4, 0x93f65eba
	s_mov_b32 s5, 0x3cdee6d8
	v_fma_f64 v[11:12], v[4:5], v[15:16], -v[11:12]
	v_add_f64 v[11:12], v[11:12], s[4:5]
	s_mov_b32 s4, 0xc297fbeb
	s_mov_b32 s5, 0xbd0a5022
	v_fma_f64 v[15:16], v[4:5], v[11:12], -v[15:16]
	;; [unrolled: 4-line block ×20, first 2 shown]
	v_add_f64 v[15:16], v[15:16], s[4:5]
	s_mov_b32 s4, 0x652b82fe
	s_mov_b32 s5, 0x3ff71547
	v_mul_f64 v[17:18], |v[8:9]|, s[4:5]
	s_mov_b32 s4, 0xf3dde3dd
	s_mov_b32 s5, 0x3f859961
	v_fma_f64 v[11:12], v[4:5], v[15:16], -v[11:12]
	v_rndne_f64_e32 v[17:18], v[17:18]
	v_add_f64 v[11:12], v[11:12], s[4:5]
	s_mov_b32 s4, 0xfefa39ef
	s_mov_b32 s5, 0xbfe62e42
	v_fma_f64 v[8:9], v[17:18], s[4:5], |v[8:9]|
	s_mov_b32 s4, 0xf121b6f0
	s_mov_b32 s5, 0xbf984e9e
	v_fma_f64 v[15:16], v[4:5], v[11:12], -v[15:16]
	v_fma_f64 v[8:9], v[17:18], s[6:7], v[8:9]
	s_mov_b32 s6, 0x623fde64
	s_mov_b32 s7, 0x3ec71dee
	v_add_f64 v[15:16], v[15:16], s[4:5]
	s_mov_b32 s4, 0x6a5dcb37
	s_mov_b32 s5, 0x3e5ade15
	v_fma_f64 v[19:20], v[8:9], s[4:5], v[19:20]
	s_mov_b32 s4, 0xcea8a32d
	s_mov_b32 s5, 0x3fa93e8a
	v_fma_f64 v[11:12], v[4:5], v[15:16], -v[11:12]
	v_fma_f64 v[19:20], v[8:9], v[19:20], s[6:7]
	s_mov_b32 s6, 0x14761f6e
	s_mov_b32 s7, 0x3f2a01a0
	v_add_f64 v[11:12], v[11:12], s[4:5]
	s_mov_b32 s4, 0x7c89e6b0
	s_mov_b32 s5, 0x3efa0199
	v_fma_f64 v[19:20], v[8:9], v[19:20], s[4:5]
	s_mov_b32 s4, 0x342d06ea
	s_mov_b32 s5, 0xbfb84b70
	v_fma_f64 v[15:16], v[4:5], v[11:12], -v[15:16]
	v_fma_f64 v[19:20], v[8:9], v[19:20], s[6:7]
	s_mov_b32 s6, 0x11122322
	s_mov_b32 s7, 0x3f811111
	v_add_f64 v[15:16], v[15:16], s[4:5]
	s_mov_b32 s4, 0x1852b7b0
	s_mov_b32 s5, 0x3f56c16c
	v_fma_f64 v[19:20], v[8:9], v[19:20], s[4:5]
	s_mov_b32 s4, 0x77ac88c0
	s_mov_b32 s5, 0x3fc5f7ac
	v_fma_f64 v[11:12], v[4:5], v[15:16], -v[11:12]
	v_fma_f64 v[19:20], v[8:9], v[19:20], s[6:7]
	s_mov_b32 s6, 0x55555511
	s_mov_b32 s7, 0x3fc55555
	v_add_f64 v[11:12], v[11:12], s[4:5]
	s_mov_b32 s4, 0x555502a1
	s_mov_b32 s5, 0x3fa55555
	v_fma_f64 v[19:20], v[8:9], v[19:20], s[4:5]
	s_mov_b32 s4, 0xc057cd8d
	s_mov_b32 s5, 0xbfd37feb
	v_fma_f64 v[15:16], v[4:5], v[11:12], -v[15:16]
	v_fma_f64 v[19:20], v[8:9], v[19:20], s[6:7]
	v_add_f64 v[15:16], v[15:16], s[4:5]
	s_mov_b32 s4, 11
	s_mov_b32 s5, 0x3fe00000
	v_fma_f64 v[19:20], v[8:9], v[19:20], s[4:5]
	s_mov_b32 s4, 0x9035a22a
	s_mov_b32 s5, 0x3fe5a84e
	v_fma_f64 v[4:5], v[4:5], v[15:16], -v[11:12]
	v_fma_f64 v[15:16], v[8:9], v[19:20], 1.0
	v_add_f64 v[4:5], v[4:5], s[4:5]
	v_fma_f64 v[8:9], v[8:9], v[15:16], 1.0
	v_add_f64 v[4:5], v[4:5], -v[11:12]
	v_cvt_i32_f64_e32 v11, v[17:18]
	v_ldexp_f64 v[8:9], v[8:9], v11
	v_mul_f64 v[4:5], v[4:5], 0.5
	v_mul_f64 v[4:5], v[8:9], v[4:5]
                                        ; implicit-def: $vgpr8_vgpr9
.LBB9_1418:
	s_andn2_saveexec_b64 s[4:5], s[0:1]
	s_cbranch_execz .LBB9_1420
; %bb.1419:
	s_mov_b32 s0, 0
	v_and_b32_e32 v5, 0x7fffffff, v9
	v_mov_b32_e32 v4, v8
	s_mov_b32 s1, 0x40400000
	v_div_scale_f64 v[11:12], s[6:7], v[4:5], v[4:5], s[0:1]
	v_div_scale_f64 v[4:5], vcc, s[0:1], v[4:5], s[0:1]
	s_mov_b32 s6, 0x3b39803f
	s_mov_b32 s7, 0xbc7abc9e
	v_mov_b32_e32 v21, 0xfca7ab0c
	v_mov_b32_e32 v22, 0x3e928af3
	s_mov_b32 s12, 0
	s_brev_b32 s13, 8
	v_mov_b32_e32 v13, 0x100
	v_rcp_f64_e32 v[15:16], v[11:12]
	v_fma_f64 v[17:18], -v[11:12], v[15:16], 1.0
	v_fma_f64 v[15:16], v[15:16], v[17:18], v[15:16]
	v_fma_f64 v[17:18], -v[11:12], v[15:16], 1.0
	v_fma_f64 v[15:16], v[15:16], v[17:18], v[15:16]
	v_mul_f64 v[17:18], v[4:5], v[15:16]
	v_fma_f64 v[4:5], -v[11:12], v[17:18], v[4:5]
	v_mov_b32_e32 v11, 0x66119130
	v_mov_b32_e32 v12, 0xbc5646da
	v_div_fmas_f64 v[4:5], v[4:5], v[15:16], v[17:18]
	v_cmp_lt_f64_e64 vcc, |v[8:9]|, s[12:13]
	v_cndmask_b32_e32 v13, 0, v13, vcc
	v_ldexp_f64 v[23:24], |v[8:9]|, v13
	v_div_fixup_f64 v[4:5], v[4:5], |v[8:9]|, s[0:1]
	s_mov_b32 s1, 0xbc60adb7
	s_mov_b32 s0, 0x54ca8b19
	v_rsq_f64_e32 v[25:26], v[23:24]
	v_add_f64 v[4:5], v[4:5], -2.0
	v_fma_f64 v[11:12], v[4:5], s[0:1], v[11:12]
	s_mov_b32 s1, 0x3c60adb7
	v_mul_f64 v[27:28], v[23:24], v[25:26]
	v_mul_f64 v[25:26], v[25:26], 0.5
	v_fma_f64 v[15:16], v[4:5], v[11:12], s[0:1]
	s_mov_b32 s0, 0x12d98421
	s_mov_b32 s1, 0x3c89be18
	v_fma_f64 v[29:30], -v[25:26], v[27:28], 0.5
	v_add_f64 v[15:16], v[15:16], s[0:1]
	s_mov_b32 s0, 0x76041cd
	s_mov_b32 s1, 0x3c83f3dd
	v_fma_f64 v[27:28], v[27:28], v[29:30], v[27:28]
	v_fma_f64 v[25:26], v[25:26], v[29:30], v[25:26]
	v_fma_f64 v[11:12], v[4:5], v[15:16], -v[11:12]
	v_fma_f64 v[29:30], -v[27:28], v[27:28], v[23:24]
	v_add_f64 v[11:12], v[11:12], s[0:1]
	s_mov_b32 s0, 0xabd21fe4
	s_mov_b32 s1, 0xbcb4600b
	v_fma_f64 v[15:16], v[4:5], v[11:12], -v[15:16]
	v_add_f64 v[15:16], v[15:16], s[0:1]
	s_mov_b32 s0, 0xd908de38
	s_mov_b32 s1, 0xbcb8aee7
	v_fma_f64 v[11:12], v[4:5], v[15:16], -v[11:12]
	;; [unrolled: 4-line block ×14, first 2 shown]
	v_add_f64 v[17:18], v[11:12], s[0:1]
	s_mov_b32 s0, 0x652b82fe
	s_mov_b32 s1, 0x3ff71547
	v_mul_f64 v[11:12], |v[8:9]|, s[0:1]
	s_mov_b32 s0, 0xa9225b87
	s_mov_b32 s1, 0x3e2d2c64
	v_fma_f64 v[15:16], v[4:5], v[17:18], -v[15:16]
	v_rndne_f64_e32 v[11:12], v[11:12]
	v_add_f64 v[19:20], v[15:16], s[0:1]
	s_mov_b32 s0, 0xfefa39ef
	s_mov_b32 s1, 0xbfe62e42
	v_fma_f64 v[15:16], v[11:12], s[0:1], |v[8:9]|
	s_mov_b32 s0, 0x80d6d56d
	s_mov_b32 s1, 0x3e585692
	v_cvt_i32_f64_e32 v13, v[11:12]
	v_fma_f64 v[17:18], v[4:5], v[19:20], -v[17:18]
	v_fma_f64 v[15:16], v[11:12], s[6:7], v[15:16]
	s_mov_b32 s6, 0x623fde64
	s_mov_b32 s7, 0x3ec71dee
	v_add_f64 v[17:18], v[17:18], s[0:1]
	s_mov_b32 s0, 0x6a5dcb37
	s_mov_b32 s1, 0x3e5ade15
	v_fma_f64 v[21:22], v[15:16], s[0:1], v[21:22]
	s_mov_b32 s0, 0xd9cd616e
	s_mov_b32 s1, 0x3e8b8007
	v_fma_f64 v[19:20], v[4:5], v[17:18], -v[19:20]
	v_fma_f64 v[21:22], v[15:16], v[21:22], s[6:7]
	s_mov_b32 s6, 0x14761f6e
	s_mov_b32 s7, 0x3f2a01a0
	v_add_f64 v[19:20], v[19:20], s[0:1]
	s_mov_b32 s0, 0x7c89e6b0
	s_mov_b32 s1, 0x3efa0199
	v_fma_f64 v[21:22], v[15:16], v[21:22], s[0:1]
	s_mov_b32 s0, 0xc101c586
	s_mov_b32 s1, 0x3ec8412b
	;; [unrolled: 10-line block ×4, first 2 shown]
	v_fma_f64 v[17:18], v[4:5], v[19:20], -v[17:18]
	v_fma_f64 v[21:22], v[15:16], v[21:22], s[6:7]
	v_add_f64 v[17:18], v[17:18], s[0:1]
	s_mov_b32 s0, 11
	s_mov_b32 s1, 0x3fe00000
	v_fma_f64 v[21:22], v[15:16], v[21:22], s[0:1]
	s_mov_b32 s0, 0xaca809cb
	s_mov_b32 s1, 0x3fe9be62
	v_fma_f64 v[4:5], v[4:5], v[17:18], -v[19:20]
	v_fma_f64 v[17:18], v[29:30], v[25:26], v[27:28]
	v_fma_f64 v[21:22], v[15:16], v[21:22], 1.0
	v_add_f64 v[4:5], v[4:5], s[0:1]
	v_fma_f64 v[27:28], -v[17:18], v[17:18], v[23:24]
	s_mov_b32 s0, 0
	v_fma_f64 v[15:16], v[15:16], v[21:22], 1.0
	s_mov_b32 s1, 0x40900000
	v_cmp_ngt_f64_e64 s[0:1], |v[8:9]|, s[0:1]
	v_mov_b32_e32 v8, 0xffffff80
	v_cndmask_b32_e32 v8, 0, v8, vcc
	v_add_f64 v[4:5], v[4:5], -v[19:20]
	v_fma_f64 v[11:12], v[27:28], v[25:26], v[17:18]
	v_mov_b32_e32 v17, 0x7ff00000
	v_ldexp_f64 v[15:16], v[15:16], v13
	v_mov_b32_e32 v13, 0x260
	v_cmp_class_f64_e32 vcc, v[23:24], v13
	v_mul_f64 v[4:5], v[4:5], 0.5
	v_ldexp_f64 v[8:9], v[11:12], v8
	v_cndmask_b32_e64 v12, v17, v16, s[0:1]
	v_cndmask_b32_e64 v11, 0, v15, s[0:1]
	v_mul_f64 v[4:5], v[11:12], v[4:5]
	v_cndmask_b32_e32 v9, v9, v24, vcc
	v_cndmask_b32_e32 v8, v8, v23, vcc
	v_div_scale_f64 v[11:12], s[0:1], v[8:9], v[8:9], v[4:5]
	v_div_scale_f64 v[19:20], vcc, v[4:5], v[8:9], v[4:5]
	v_rcp_f64_e32 v[15:16], v[11:12]
	v_fma_f64 v[17:18], -v[11:12], v[15:16], 1.0
	v_fma_f64 v[15:16], v[15:16], v[17:18], v[15:16]
	v_fma_f64 v[17:18], -v[11:12], v[15:16], 1.0
	v_fma_f64 v[15:16], v[15:16], v[17:18], v[15:16]
	v_mul_f64 v[17:18], v[19:20], v[15:16]
	v_fma_f64 v[11:12], -v[11:12], v[17:18], v[19:20]
	v_div_fmas_f64 v[11:12], v[11:12], v[15:16], v[17:18]
	v_div_fixup_f64 v[4:5], v[11:12], v[8:9], v[4:5]
.LBB9_1420:
	s_or_b64 exec, exec, s[4:5]
	v_mov_b32_e32 v8, s11
	v_add_co_u32_e32 v7, vcc, s10, v7
	s_cmp_lt_i32 s17, 11
	v_addc_co_u32_e32 v8, vcc, 0, v8, vcc
	s_cbranch_scc1 .LBB9_1427
; %bb.1421:
	s_and_b32 s18, 0xffff, s17
	s_cmp_gt_i32 s18, 25
	s_mov_b64 s[4:5], 0
	s_cbranch_scc0 .LBB9_1429
; %bb.1422:
	s_cmp_gt_i32 s18, 28
	s_cbranch_scc0 .LBB9_1430
; %bb.1423:
	s_cmp_gt_i32 s18, 43
	;; [unrolled: 3-line block ×3, first 2 shown]
	s_cbranch_scc0 .LBB9_1433
; %bb.1425:
	s_cmp_eq_u32 s18, 46
	s_mov_b64 s[12:13], 0
	s_cbranch_scc0 .LBB9_1434
; %bb.1426:
	global_load_dword v9, v[7:8], off
	s_mov_b64 s[0:1], 0
	s_mov_b64 s[6:7], -1
	s_waitcnt vmcnt(0)
	v_lshlrev_b32_e32 v9, 16, v9
	v_cvt_f64_f32_e32 v[11:12], v9
	s_branch .LBB9_1435
.LBB9_1427:
	s_mov_b64 s[6:7], 0
                                        ; implicit-def: $vgpr11_vgpr12
	s_cbranch_execnz .LBB9_1501
.LBB9_1428:
	s_andn2_b64 vcc, exec, s[6:7]
	s_cbranch_vccnz .LBB9_1765
	s_branch .LBB9_1549
.LBB9_1429:
	s_mov_b64 s[12:13], -1
	s_mov_b64 s[6:7], 0
	s_mov_b64 s[0:1], 0
                                        ; implicit-def: $vgpr11_vgpr12
	s_branch .LBB9_1466
.LBB9_1430:
	s_mov_b64 s[12:13], -1
	s_mov_b64 s[6:7], 0
	s_mov_b64 s[0:1], 0
                                        ; implicit-def: $vgpr11_vgpr12
	s_branch .LBB9_1445
.LBB9_1431:
	s_mov_b64 s[12:13], -1
	s_mov_b64 s[6:7], 0
	s_mov_b64 s[0:1], 0
                                        ; implicit-def: $vgpr11_vgpr12
	s_branch .LBB9_1440
.LBB9_1432:
	s_trap 2
	s_or_b64 s[2:3], s[2:3], exec
	s_cbranch_execz .LBB9_1367
	s_branch .LBB9_1368
.LBB9_1433:
	s_mov_b64 s[12:13], -1
	s_mov_b64 s[6:7], 0
	s_mov_b64 s[0:1], 0
                                        ; implicit-def: $vgpr11_vgpr12
	s_branch .LBB9_1435
.LBB9_1434:
	s_mov_b64 s[0:1], -1
                                        ; implicit-def: $vgpr11_vgpr12
	s_mov_b64 s[6:7], 0
.LBB9_1435:
	s_and_b64 vcc, exec, s[12:13]
	s_cbranch_vccz .LBB9_1439
; %bb.1436:
	s_cmp_eq_u32 s18, 44
	s_cbranch_scc0 .LBB9_1438
; %bb.1437:
	global_load_ubyte v9, v[7:8], off
	s_movk_i32 s6, 0xff
	v_bfrev_b32_e32 v13, 4
	v_mov_b32_e32 v15, 0x7ff80000
	v_bfrev_b32_e32 v16, 28
	s_mov_b64 s[0:1], 0
	s_waitcnt vmcnt(0)
	v_lshlrev_b32_e32 v11, 23, v9
	v_cvt_f64_f32_e32 v[11:12], v11
	v_cmp_ne_u32_e32 vcc, s6, v9
	s_mov_b64 s[6:7], -1
	v_cndmask_b32_e32 v11, v13, v11, vcc
	v_cndmask_b32_e32 v12, v15, v12, vcc
	v_cmp_ne_u32_e32 vcc, 0, v9
	v_cndmask_b32_e32 v12, v16, v12, vcc
	v_cndmask_b32_e32 v11, 0, v11, vcc
	s_branch .LBB9_1439
.LBB9_1438:
	s_mov_b64 s[0:1], -1
                                        ; implicit-def: $vgpr11_vgpr12
.LBB9_1439:
	s_mov_b64 s[12:13], 0
.LBB9_1440:
	s_and_b64 vcc, exec, s[12:13]
	s_cbranch_vccz .LBB9_1444
; %bb.1441:
	s_cmp_eq_u32 s18, 29
	s_cbranch_scc0 .LBB9_1443
; %bb.1442:
	global_load_dwordx2 v[11:12], v[7:8], off
	s_mov_b64 s[0:1], 0
	s_mov_b64 s[6:7], -1
	s_mov_b64 s[12:13], 0
	s_waitcnt vmcnt(0)
	v_cvt_f64_u32_e32 v[12:13], v12
	v_cvt_f64_u32_e32 v[15:16], v11
	v_ldexp_f64 v[12:13], v[12:13], 32
	v_add_f64 v[11:12], v[12:13], v[15:16]
	s_branch .LBB9_1445
.LBB9_1443:
	s_mov_b64 s[0:1], -1
                                        ; implicit-def: $vgpr11_vgpr12
.LBB9_1444:
	s_mov_b64 s[12:13], 0
.LBB9_1445:
	s_and_b64 vcc, exec, s[12:13]
	s_cbranch_vccz .LBB9_1465
; %bb.1446:
	s_cmp_lt_i32 s18, 27
	s_cbranch_scc1 .LBB9_1449
; %bb.1447:
	s_cmp_gt_i32 s18, 27
	s_cbranch_scc0 .LBB9_1450
; %bb.1448:
	global_load_dword v9, v[7:8], off
	s_mov_b64 s[6:7], 0
	s_waitcnt vmcnt(0)
	v_cvt_f64_u32_e32 v[11:12], v9
	s_branch .LBB9_1451
.LBB9_1449:
	s_mov_b64 s[6:7], -1
                                        ; implicit-def: $vgpr11_vgpr12
	s_branch .LBB9_1454
.LBB9_1450:
	s_mov_b64 s[6:7], -1
                                        ; implicit-def: $vgpr11_vgpr12
.LBB9_1451:
	s_andn2_b64 vcc, exec, s[6:7]
	s_cbranch_vccnz .LBB9_1453
; %bb.1452:
	global_load_ushort v9, v[7:8], off
	s_waitcnt vmcnt(0)
	v_cvt_f64_u32_e32 v[11:12], v9
.LBB9_1453:
	s_mov_b64 s[6:7], 0
.LBB9_1454:
	s_andn2_b64 vcc, exec, s[6:7]
	s_cbranch_vccnz .LBB9_1464
; %bb.1455:
	global_load_ubyte v9, v[7:8], off
	s_movk_i32 s6, 0x7f
	s_waitcnt vmcnt(0)
	v_cmp_lt_i16_e32 vcc, s6, v9
	s_mov_b64 s[6:7], 0
	s_and_saveexec_b64 s[12:13], vcc
	s_xor_b64 s[12:13], exec, s[12:13]
	s_cbranch_execz .LBB9_1459
; %bb.1456:
	s_movk_i32 s6, 0x80
	v_cmp_eq_u16_e32 vcc, s6, v9
	s_mov_b64 s[6:7], -1
	s_and_saveexec_b64 s[14:15], vcc
; %bb.1457:
	s_xor_b64 s[6:7], exec, -1
; %bb.1458:
	s_or_b64 exec, exec, s[14:15]
	s_and_b64 s[6:7], s[6:7], exec
.LBB9_1459:
	s_or_saveexec_b64 s[12:13], s[12:13]
	v_bfrev_b32_e32 v11, 4
	v_mov_b32_e32 v12, 0x7ff80000
	s_xor_b64 exec, exec, s[12:13]
; %bb.1460:
	v_cmp_ne_u16_e32 vcc, 0, v9
	v_mov_b32_e32 v11, 0
	s_andn2_b64 s[6:7], s[6:7], exec
	s_and_b64 s[14:15], vcc, exec
	v_mov_b32_e32 v12, 0
	s_or_b64 s[6:7], s[6:7], s[14:15]
; %bb.1461:
	s_or_b64 exec, exec, s[12:13]
	s_and_saveexec_b64 s[12:13], s[6:7]
	s_cbranch_execz .LBB9_1463
; %bb.1462:
	v_lshlrev_b32_e32 v11, 24, v9
	v_and_b32_e32 v9, 0xffff, v9
	v_and_b32_e32 v12, 7, v9
	v_ffbh_u32_e32 v15, v12
	v_min_u32_e32 v15, 32, v15
	v_subrev_u32_e32 v16, 28, v15
	v_bfe_u32 v13, v9, 3, 4
	v_lshlrev_b32_e32 v9, v16, v9
	v_sub_u32_e32 v15, 29, v15
	v_and_b32_e32 v9, 7, v9
	v_cmp_eq_u32_e32 vcc, 0, v13
	v_cndmask_b32_e32 v13, v13, v15, vcc
	v_cndmask_b32_e32 v9, v12, v9, vcc
	v_mov_b32_e32 v12, 0x3b800000
	v_lshlrev_b32_e32 v9, 20, v9
	v_and_b32_e32 v11, 0x80000000, v11
	v_lshl_add_u32 v12, v13, 23, v12
	v_or3_b32 v9, v11, v12, v9
	v_cvt_f64_f32_e32 v[11:12], v9
.LBB9_1463:
	s_or_b64 exec, exec, s[12:13]
.LBB9_1464:
	s_mov_b64 s[6:7], -1
.LBB9_1465:
	s_mov_b64 s[12:13], 0
.LBB9_1466:
	s_and_b64 vcc, exec, s[12:13]
	s_cbranch_vccz .LBB9_1497
; %bb.1467:
	s_cmp_gt_i32 s18, 22
	s_cbranch_scc0 .LBB9_1479
; %bb.1468:
	s_cmp_lt_i32 s18, 24
	s_cbranch_scc1 .LBB9_1480
; %bb.1469:
	s_cmp_gt_i32 s18, 24
	s_cbranch_scc0 .LBB9_1481
; %bb.1470:
	global_load_ubyte v9, v[7:8], off
	s_movk_i32 s4, 0x7f
	s_waitcnt vmcnt(0)
	v_cmp_lt_i16_e32 vcc, s4, v9
	s_mov_b64 s[4:5], 0
	s_and_saveexec_b64 s[6:7], vcc
	s_xor_b64 s[6:7], exec, s[6:7]
	s_cbranch_execz .LBB9_1474
; %bb.1471:
	s_movk_i32 s4, 0x80
	v_cmp_eq_u16_e32 vcc, s4, v9
	s_mov_b64 s[4:5], -1
	s_and_saveexec_b64 s[12:13], vcc
; %bb.1472:
	s_xor_b64 s[4:5], exec, -1
; %bb.1473:
	s_or_b64 exec, exec, s[12:13]
	s_and_b64 s[4:5], s[4:5], exec
.LBB9_1474:
	s_or_saveexec_b64 s[6:7], s[6:7]
	v_bfrev_b32_e32 v11, 4
	v_mov_b32_e32 v12, 0x7ff80000
	s_xor_b64 exec, exec, s[6:7]
; %bb.1475:
	v_cmp_ne_u16_e32 vcc, 0, v9
	v_mov_b32_e32 v11, 0
	s_andn2_b64 s[4:5], s[4:5], exec
	s_and_b64 s[12:13], vcc, exec
	v_mov_b32_e32 v12, 0
	s_or_b64 s[4:5], s[4:5], s[12:13]
; %bb.1476:
	s_or_b64 exec, exec, s[6:7]
	s_and_saveexec_b64 s[6:7], s[4:5]
	s_cbranch_execz .LBB9_1478
; %bb.1477:
	v_lshlrev_b32_e32 v11, 24, v9
	v_and_b32_e32 v9, 0xffff, v9
	v_and_b32_e32 v12, 3, v9
	v_ffbh_u32_e32 v15, v12
	v_min_u32_e32 v15, 32, v15
	v_subrev_u32_e32 v16, 29, v15
	v_bfe_u32 v13, v9, 2, 5
	v_lshlrev_b32_e32 v9, v16, v9
	v_sub_u32_e32 v15, 30, v15
	v_and_b32_e32 v9, 3, v9
	v_cmp_eq_u32_e32 vcc, 0, v13
	v_cndmask_b32_e32 v13, v13, v15, vcc
	v_cndmask_b32_e32 v9, v12, v9, vcc
	v_mov_b32_e32 v12, 0x37800000
	v_lshlrev_b32_e32 v9, 21, v9
	v_and_b32_e32 v11, 0x80000000, v11
	v_lshl_add_u32 v12, v13, 23, v12
	v_or3_b32 v9, v11, v12, v9
	v_cvt_f64_f32_e32 v[11:12], v9
.LBB9_1478:
	s_or_b64 exec, exec, s[6:7]
	s_mov_b64 s[4:5], 0
	s_branch .LBB9_1482
.LBB9_1479:
	s_mov_b64 s[4:5], -1
                                        ; implicit-def: $vgpr11_vgpr12
	s_branch .LBB9_1488
.LBB9_1480:
	s_mov_b64 s[4:5], -1
                                        ; implicit-def: $vgpr11_vgpr12
	s_branch .LBB9_1485
.LBB9_1481:
	s_mov_b64 s[4:5], -1
                                        ; implicit-def: $vgpr11_vgpr12
.LBB9_1482:
	s_and_b64 vcc, exec, s[4:5]
	s_cbranch_vccz .LBB9_1484
; %bb.1483:
	global_load_ubyte v9, v[7:8], off
	s_mov_b32 s4, 0x7f800000
	s_waitcnt vmcnt(0)
	v_lshlrev_b32_e32 v9, 24, v9
	v_and_b32_e32 v11, 0x7f000000, v9
	v_ffbh_u32_e32 v12, v11
	v_min_u32_e32 v12, 32, v12
	v_sub_u32_e64 v12, v12, 4 clamp
	v_lshlrev_b32_e32 v15, v12, v11
	v_lshlrev_b32_e32 v12, 23, v12
	v_lshrrev_b32_e32 v15, 4, v15
	v_add_u32_e32 v13, 0x1000000, v11
	v_sub_u32_e32 v12, v15, v12
	v_ashrrev_i32_e32 v13, 8, v13
	v_add_u32_e32 v12, 0x3c000000, v12
	v_and_or_b32 v12, v13, s4, v12
	v_cmp_ne_u32_e32 vcc, 0, v11
	v_cndmask_b32_e32 v11, 0, v12, vcc
	s_brev_b32 s4, 1
	v_and_or_b32 v9, v9, s4, v11
	v_cvt_f64_f32_e32 v[11:12], v9
.LBB9_1484:
	s_mov_b64 s[4:5], 0
.LBB9_1485:
	s_andn2_b64 vcc, exec, s[4:5]
	s_cbranch_vccnz .LBB9_1487
; %bb.1486:
	global_load_ubyte v9, v[7:8], off
	s_movk_i32 s4, 0x7f00
	s_brev_b32 s5, 16
	s_waitcnt vmcnt(0)
	v_lshlrev_b16_e32 v11, 8, v9
	v_lshlrev_b32_e32 v9, 25, v9
	v_lshrrev_b32_e32 v12, 4, v9
	v_and_or_b32 v13, v11, s4, 0.5
	v_or_b32_e32 v12, 0x70000000, v12
	v_add_f32_e32 v13, -0.5, v13
	v_mul_f32_e32 v12, 0x7800000, v12
	v_cmp_gt_u32_e32 vcc, s5, v9
	v_bfe_i32 v11, v11, 0, 16
	v_cndmask_b32_e32 v9, v12, v13, vcc
	s_brev_b32 s4, 1
	v_and_or_b32 v9, v11, s4, v9
	v_cvt_f64_f32_e32 v[11:12], v9
.LBB9_1487:
	s_mov_b64 s[4:5], 0
	s_mov_b64 s[6:7], -1
.LBB9_1488:
	s_andn2_b64 vcc, exec, s[4:5]
	s_mov_b64 s[4:5], 0
	s_cbranch_vccnz .LBB9_1497
; %bb.1489:
	s_cmp_gt_i32 s18, 14
	s_cbranch_scc0 .LBB9_1492
; %bb.1490:
	s_cmp_eq_u32 s18, 15
	s_cbranch_scc0 .LBB9_1493
; %bb.1491:
	global_load_ushort v9, v[7:8], off
	s_mov_b64 s[0:1], 0
	s_mov_b64 s[6:7], -1
	s_waitcnt vmcnt(0)
	v_lshlrev_b32_e32 v9, 16, v9
	v_cvt_f64_f32_e32 v[11:12], v9
	s_branch .LBB9_1494
.LBB9_1492:
	s_mov_b64 s[12:13], -1
                                        ; implicit-def: $vgpr11_vgpr12
	s_branch .LBB9_1495
.LBB9_1493:
	s_mov_b64 s[0:1], -1
                                        ; implicit-def: $vgpr11_vgpr12
.LBB9_1494:
	s_mov_b64 s[12:13], 0
.LBB9_1495:
	s_and_b64 vcc, exec, s[12:13]
	s_cbranch_vccz .LBB9_1497
; %bb.1496:
	s_cmp_lg_u32 s18, 11
	s_mov_b64 s[4:5], -1
	s_cselect_b64 s[0:1], -1, 0
.LBB9_1497:
	s_and_b64 vcc, exec, s[0:1]
	s_cbranch_vccnz .LBB9_1564
; %bb.1498:
	s_andn2_b64 vcc, exec, s[4:5]
	s_cbranch_vccnz .LBB9_1500
.LBB9_1499:
	global_load_ubyte v9, v[7:8], off
	v_mov_b32_e32 v12, 0x3ff00000
	v_mov_b32_e32 v11, 0
	s_mov_b64 s[6:7], -1
	s_waitcnt vmcnt(0)
	v_cmp_ne_u16_e32 vcc, 0, v9
	v_cndmask_b32_e32 v12, 0, v12, vcc
.LBB9_1500:
	s_branch .LBB9_1428
.LBB9_1501:
	s_and_b32 s4, 0xffff, s17
	s_cmp_lt_i32 s4, 5
	s_cbranch_scc1 .LBB9_1506
; %bb.1502:
	s_cmp_lt_i32 s4, 8
	s_cbranch_scc1 .LBB9_1507
; %bb.1503:
	;; [unrolled: 3-line block ×3, first 2 shown]
	s_cmp_gt_i32 s4, 9
	s_cbranch_scc0 .LBB9_1509
; %bb.1505:
	global_load_dwordx2 v[11:12], v[7:8], off
	s_mov_b64 s[0:1], 0
	s_branch .LBB9_1510
.LBB9_1506:
	s_mov_b64 s[0:1], -1
                                        ; implicit-def: $vgpr11_vgpr12
	s_branch .LBB9_1528
.LBB9_1507:
	s_mov_b64 s[0:1], -1
                                        ; implicit-def: $vgpr11_vgpr12
	s_branch .LBB9_1516
.LBB9_1508:
	s_mov_b64 s[0:1], -1
                                        ; implicit-def: $vgpr11_vgpr12
	s_branch .LBB9_1513
.LBB9_1509:
	s_mov_b64 s[0:1], -1
                                        ; implicit-def: $vgpr11_vgpr12
.LBB9_1510:
	s_andn2_b64 vcc, exec, s[0:1]
	s_cbranch_vccnz .LBB9_1512
; %bb.1511:
	global_load_dword v9, v[7:8], off
	s_waitcnt vmcnt(0)
	v_cvt_f64_f32_e32 v[11:12], v9
.LBB9_1512:
	s_mov_b64 s[0:1], 0
.LBB9_1513:
	s_andn2_b64 vcc, exec, s[0:1]
	s_cbranch_vccnz .LBB9_1515
; %bb.1514:
	global_load_dword v9, v[7:8], off
	s_waitcnt vmcnt(0)
	v_cvt_f32_f16_e32 v9, v9
	v_cvt_f64_f32_e32 v[11:12], v9
.LBB9_1515:
	s_mov_b64 s[0:1], 0
.LBB9_1516:
	s_andn2_b64 vcc, exec, s[0:1]
	s_cbranch_vccnz .LBB9_1527
; %bb.1517:
	s_cmp_lt_i32 s4, 6
	s_cbranch_scc1 .LBB9_1520
; %bb.1518:
	s_cmp_gt_i32 s4, 6
	s_cbranch_scc0 .LBB9_1521
; %bb.1519:
	global_load_dwordx2 v[11:12], v[7:8], off
	s_mov_b64 s[0:1], 0
	s_branch .LBB9_1522
.LBB9_1520:
	s_mov_b64 s[0:1], -1
                                        ; implicit-def: $vgpr11_vgpr12
	s_branch .LBB9_1525
.LBB9_1521:
	s_mov_b64 s[0:1], -1
                                        ; implicit-def: $vgpr11_vgpr12
.LBB9_1522:
	s_andn2_b64 vcc, exec, s[0:1]
	s_cbranch_vccnz .LBB9_1524
; %bb.1523:
	global_load_dword v9, v[7:8], off
	s_waitcnt vmcnt(0)
	v_cvt_f64_f32_e32 v[11:12], v9
.LBB9_1524:
	s_mov_b64 s[0:1], 0
.LBB9_1525:
	s_andn2_b64 vcc, exec, s[0:1]
	s_cbranch_vccnz .LBB9_1527
; %bb.1526:
	global_load_ushort v9, v[7:8], off
	s_waitcnt vmcnt(0)
	v_cvt_f32_f16_e32 v9, v9
	v_cvt_f64_f32_e32 v[11:12], v9
.LBB9_1527:
	s_mov_b64 s[0:1], 0
.LBB9_1528:
	s_andn2_b64 vcc, exec, s[0:1]
	s_cbranch_vccnz .LBB9_1548
; %bb.1529:
	s_cmp_lt_i32 s4, 2
	s_cbranch_scc1 .LBB9_1533
; %bb.1530:
	s_cmp_lt_i32 s4, 3
	s_cbranch_scc1 .LBB9_1534
; %bb.1531:
	s_cmp_gt_i32 s4, 3
	s_cbranch_scc0 .LBB9_1535
; %bb.1532:
	global_load_dwordx2 v[11:12], v[7:8], off
	s_mov_b64 s[0:1], 0
	s_waitcnt vmcnt(0)
	v_cvt_f64_i32_e32 v[12:13], v12
	v_cvt_f64_u32_e32 v[15:16], v11
	v_ldexp_f64 v[12:13], v[12:13], 32
	v_add_f64 v[11:12], v[12:13], v[15:16]
	s_branch .LBB9_1536
.LBB9_1533:
	s_mov_b64 s[0:1], -1
                                        ; implicit-def: $vgpr11_vgpr12
	s_branch .LBB9_1542
.LBB9_1534:
	s_mov_b64 s[0:1], -1
                                        ; implicit-def: $vgpr11_vgpr12
	s_branch .LBB9_1539
.LBB9_1535:
	s_mov_b64 s[0:1], -1
                                        ; implicit-def: $vgpr11_vgpr12
.LBB9_1536:
	s_andn2_b64 vcc, exec, s[0:1]
	s_cbranch_vccnz .LBB9_1538
; %bb.1537:
	global_load_dword v9, v[7:8], off
	s_waitcnt vmcnt(0)
	v_cvt_f64_i32_e32 v[11:12], v9
.LBB9_1538:
	s_mov_b64 s[0:1], 0
.LBB9_1539:
	s_andn2_b64 vcc, exec, s[0:1]
	s_cbranch_vccnz .LBB9_1541
; %bb.1540:
	global_load_sshort v9, v[7:8], off
	s_waitcnt vmcnt(0)
	v_cvt_f64_i32_e32 v[11:12], v9
.LBB9_1541:
	s_mov_b64 s[0:1], 0
.LBB9_1542:
	s_andn2_b64 vcc, exec, s[0:1]
	s_cbranch_vccnz .LBB9_1548
; %bb.1543:
	s_cmp_gt_i32 s4, 0
	s_cbranch_scc0 .LBB9_1545
; %bb.1544:
	global_load_sbyte v9, v[7:8], off
	s_mov_b64 s[0:1], 0
	s_waitcnt vmcnt(0)
	v_cvt_f64_i32_e32 v[11:12], v9
	s_branch .LBB9_1546
.LBB9_1545:
	s_mov_b64 s[0:1], -1
                                        ; implicit-def: $vgpr11_vgpr12
.LBB9_1546:
	s_andn2_b64 vcc, exec, s[0:1]
	s_cbranch_vccnz .LBB9_1548
; %bb.1547:
	global_load_ubyte v7, v[7:8], off
	s_waitcnt vmcnt(0)
	v_cvt_f64_u32_e32 v[11:12], v7
.LBB9_1548:
.LBB9_1549:
	s_mov_b32 s0, 0
	s_mov_b32 s1, 0x40200000
	s_waitcnt vmcnt(0)
	v_cmp_le_f64_e64 s[0:1], |v[11:12]|, s[0:1]
                                        ; implicit-def: $vgpr8_vgpr9
	s_and_saveexec_b64 s[4:5], s[0:1]
	s_xor_b64 s[0:1], exec, s[4:5]
	s_cbranch_execz .LBB9_1551
; %bb.1550:
	v_fma_f64 v[7:8], |v[11:12]|, 0.5, -2.0
	v_mov_b32_e32 v15, 0x977da589
	v_mov_b32_e32 v16, 0x3c833362
	s_mov_b32 s5, 0xbc545cb7
	s_mov_b32 s4, 0x2134d0ef
	;; [unrolled: 1-line block ×4, first 2 shown]
	v_mov_b32_e32 v21, 0xfca7ab0c
	v_fma_f64 v[15:16], v[7:8], s[4:5], v[15:16]
	s_mov_b32 s5, 0x3c545cb7
	v_mov_b32_e32 v22, 0x3e928af3
	v_fma_f64 v[17:18], v[7:8], v[15:16], s[4:5]
	s_mov_b32 s4, 0x721ebbb4
	s_mov_b32 s5, 0xbcb184eb
	v_add_f64 v[17:18], v[17:18], s[4:5]
	s_mov_b32 s4, 0x93f65eba
	s_mov_b32 s5, 0x3cdee6d8
	v_fma_f64 v[15:16], v[7:8], v[17:18], -v[15:16]
	v_add_f64 v[15:16], v[15:16], s[4:5]
	s_mov_b32 s4, 0xc297fbeb
	s_mov_b32 s5, 0xbd0a5022
	v_fma_f64 v[17:18], v[7:8], v[15:16], -v[17:18]
	;; [unrolled: 4-line block ×20, first 2 shown]
	v_add_f64 v[17:18], v[17:18], s[4:5]
	s_mov_b32 s4, 0x652b82fe
	s_mov_b32 s5, 0x3ff71547
	v_mul_f64 v[19:20], |v[11:12]|, s[4:5]
	s_mov_b32 s4, 0xf3dde3dd
	s_mov_b32 s5, 0x3f859961
	v_fma_f64 v[15:16], v[7:8], v[17:18], -v[15:16]
	v_rndne_f64_e32 v[19:20], v[19:20]
	v_add_f64 v[15:16], v[15:16], s[4:5]
	s_mov_b32 s4, 0xfefa39ef
	s_mov_b32 s5, 0xbfe62e42
	v_fma_f64 v[11:12], v[19:20], s[4:5], |v[11:12]|
	s_mov_b32 s4, 0xf121b6f0
	s_mov_b32 s5, 0xbf984e9e
	v_cvt_i32_f64_e32 v9, v[19:20]
	v_fma_f64 v[17:18], v[7:8], v[15:16], -v[17:18]
	v_fma_f64 v[11:12], v[19:20], s[6:7], v[11:12]
	s_mov_b32 s6, 0x623fde64
	s_mov_b32 s7, 0x3ec71dee
	v_add_f64 v[17:18], v[17:18], s[4:5]
	s_mov_b32 s4, 0x6a5dcb37
	s_mov_b32 s5, 0x3e5ade15
	v_fma_f64 v[21:22], v[11:12], s[4:5], v[21:22]
	s_mov_b32 s4, 0xcea8a32d
	s_mov_b32 s5, 0x3fa93e8a
	v_fma_f64 v[15:16], v[7:8], v[17:18], -v[15:16]
	v_fma_f64 v[21:22], v[11:12], v[21:22], s[6:7]
	s_mov_b32 s6, 0x14761f6e
	s_mov_b32 s7, 0x3f2a01a0
	v_add_f64 v[15:16], v[15:16], s[4:5]
	s_mov_b32 s4, 0x7c89e6b0
	s_mov_b32 s5, 0x3efa0199
	v_fma_f64 v[21:22], v[11:12], v[21:22], s[4:5]
	s_mov_b32 s4, 0x342d06ea
	s_mov_b32 s5, 0xbfb84b70
	;; [unrolled: 10-line block ×4, first 2 shown]
	v_fma_f64 v[17:18], v[7:8], v[15:16], -v[17:18]
	v_fma_f64 v[21:22], v[11:12], v[21:22], s[6:7]
	v_add_f64 v[17:18], v[17:18], s[4:5]
	s_mov_b32 s4, 11
	s_mov_b32 s5, 0x3fe00000
	v_fma_f64 v[21:22], v[11:12], v[21:22], s[4:5]
	s_mov_b32 s4, 0x9035a22a
	s_mov_b32 s5, 0x3fe5a84e
	v_fma_f64 v[7:8], v[7:8], v[17:18], -v[15:16]
	v_fma_f64 v[17:18], v[11:12], v[21:22], 1.0
	v_add_f64 v[7:8], v[7:8], s[4:5]
	v_fma_f64 v[11:12], v[11:12], v[17:18], 1.0
	v_add_f64 v[7:8], v[7:8], -v[15:16]
	v_ldexp_f64 v[11:12], v[11:12], v9
	v_mul_f64 v[7:8], v[7:8], 0.5
	v_mul_f64 v[8:9], v[11:12], v[7:8]
                                        ; implicit-def: $vgpr11_vgpr12
.LBB9_1551:
	s_andn2_saveexec_b64 s[4:5], s[0:1]
	s_cbranch_execz .LBB9_1553
; %bb.1552:
	s_mov_b32 s0, 0
	v_and_b32_e32 v8, 0x7fffffff, v12
	v_mov_b32_e32 v7, v11
	s_mov_b32 s1, 0x40400000
	v_div_scale_f64 v[15:16], s[6:7], v[7:8], v[7:8], s[0:1]
	v_div_scale_f64 v[7:8], vcc, s[0:1], v[7:8], s[0:1]
	s_mov_b32 s6, 0x3b39803f
	s_mov_b32 s7, 0xbc7abc9e
	v_mov_b32_e32 v23, 0xfca7ab0c
	v_mov_b32_e32 v24, 0x3e928af3
	s_mov_b32 s12, 0x623fde64
	s_mov_b32 s13, 0x3ec71dee
	v_mov_b32_e32 v9, 0x100
	v_mov_b32_e32 v13, 0x7ff00000
	v_rcp_f64_e32 v[17:18], v[15:16]
	v_fma_f64 v[19:20], -v[15:16], v[17:18], 1.0
	v_fma_f64 v[17:18], v[17:18], v[19:20], v[17:18]
	v_fma_f64 v[19:20], -v[15:16], v[17:18], 1.0
	v_fma_f64 v[17:18], v[17:18], v[19:20], v[17:18]
	v_mul_f64 v[19:20], v[7:8], v[17:18]
	v_fma_f64 v[7:8], -v[15:16], v[19:20], v[7:8]
	v_mov_b32_e32 v15, 0x66119130
	v_mov_b32_e32 v16, 0xbc5646da
	v_div_fmas_f64 v[7:8], v[7:8], v[17:18], v[19:20]
	v_div_fixup_f64 v[7:8], v[7:8], |v[11:12]|, s[0:1]
	s_mov_b32 s1, 0xbc60adb7
	s_mov_b32 s0, 0x54ca8b19
	v_add_f64 v[7:8], v[7:8], -2.0
	v_fma_f64 v[15:16], v[7:8], s[0:1], v[15:16]
	s_mov_b32 s1, 0x3c60adb7
	v_fma_f64 v[17:18], v[7:8], v[15:16], s[0:1]
	s_mov_b32 s0, 0x12d98421
	s_mov_b32 s1, 0x3c89be18
	v_add_f64 v[17:18], v[17:18], s[0:1]
	s_mov_b32 s0, 0x76041cd
	s_mov_b32 s1, 0x3c83f3dd
	v_fma_f64 v[15:16], v[7:8], v[17:18], -v[15:16]
	v_add_f64 v[15:16], v[15:16], s[0:1]
	s_mov_b32 s0, 0xabd21fe4
	s_mov_b32 s1, 0xbcb4600b
	v_fma_f64 v[17:18], v[7:8], v[15:16], -v[17:18]
	;; [unrolled: 4-line block ×15, first 2 shown]
	v_add_f64 v[19:20], v[15:16], s[0:1]
	s_mov_b32 s0, 0x652b82fe
	s_mov_b32 s1, 0x3ff71547
	v_mul_f64 v[15:16], |v[11:12]|, s[0:1]
	s_mov_b32 s0, 0xa9225b87
	s_mov_b32 s1, 0x3e2d2c64
	v_fma_f64 v[17:18], v[7:8], v[19:20], -v[17:18]
	v_rndne_f64_e32 v[15:16], v[15:16]
	v_add_f64 v[17:18], v[17:18], s[0:1]
	s_mov_b32 s0, 0xfefa39ef
	s_mov_b32 s1, 0xbfe62e42
	v_fma_f64 v[21:22], v[15:16], s[0:1], |v[11:12]|
	s_mov_b32 s0, 0x80d6d56d
	s_mov_b32 s1, 0x3e585692
	v_fma_f64 v[19:20], v[7:8], v[17:18], -v[19:20]
	v_fma_f64 v[21:22], v[15:16], s[6:7], v[21:22]
	s_mov_b32 s6, 0xd9cd616e
	s_mov_b32 s7, 0x3e8b8007
	v_add_f64 v[19:20], v[19:20], s[0:1]
	s_mov_b32 s0, 0x6a5dcb37
	s_mov_b32 s1, 0x3e5ade15
	v_fma_f64 v[23:24], v[21:22], s[0:1], v[23:24]
	s_mov_b32 s0, 0
	s_brev_b32 s1, 8
	v_cmp_lt_f64_e64 vcc, |v[11:12]|, s[0:1]
	s_mov_b32 s0, 0x7c89e6b0
	v_fma_f64 v[17:18], v[7:8], v[19:20], -v[17:18]
	s_mov_b32 s1, 0x3efa0199
	v_fma_f64 v[23:24], v[21:22], v[23:24], s[12:13]
	v_cndmask_b32_e32 v9, 0, v9, vcc
	v_ldexp_f64 v[25:26], |v[11:12]|, v9
	v_add_f64 v[17:18], v[17:18], s[6:7]
	s_mov_b32 s6, 0x14761f6e
	s_mov_b32 s7, 0x3f2a01a0
	v_fma_f64 v[23:24], v[21:22], v[23:24], s[0:1]
	s_mov_b32 s0, 0xc101c586
	s_mov_b32 s1, 0x3ec8412b
	v_cvt_i32_f64_e32 v9, v[15:16]
	v_rsq_f64_e32 v[27:28], v[25:26]
	v_fma_f64 v[19:20], v[7:8], v[17:18], -v[19:20]
	v_fma_f64 v[23:24], v[21:22], v[23:24], s[6:7]
	s_mov_b32 s6, 0x11122322
	s_mov_b32 s7, 0x3f811111
	v_add_f64 v[19:20], v[19:20], s[0:1]
	s_mov_b32 s0, 0x1852b7b0
	s_mov_b32 s1, 0x3f56c16c
	v_fma_f64 v[23:24], v[21:22], v[23:24], s[0:1]
	s_mov_b32 s0, 0x78999e52
	s_mov_b32 s1, 0x3f120fa3
	v_mul_f64 v[29:30], v[25:26], v[27:28]
	v_fma_f64 v[17:18], v[7:8], v[19:20], -v[17:18]
	v_mul_f64 v[27:28], v[27:28], 0.5
	v_fma_f64 v[23:24], v[21:22], v[23:24], s[6:7]
	s_mov_b32 s6, 0x55555511
	s_mov_b32 s7, 0x3fc55555
	v_add_f64 v[17:18], v[17:18], s[0:1]
	s_mov_b32 s0, 0x555502a1
	s_mov_b32 s1, 0x3fa55555
	v_fma_f64 v[31:32], -v[27:28], v[29:30], 0.5
	v_fma_f64 v[23:24], v[21:22], v[23:24], s[0:1]
	s_mov_b32 s0, 0xa2e59049
	s_mov_b32 s1, 0x3f6b998c
	v_fma_f64 v[19:20], v[7:8], v[17:18], -v[19:20]
	v_fma_f64 v[29:30], v[29:30], v[31:32], v[29:30]
	v_fma_f64 v[23:24], v[21:22], v[23:24], s[6:7]
	;; [unrolled: 1-line block ×3, first 2 shown]
	v_add_f64 v[19:20], v[19:20], s[0:1]
	s_mov_b32 s0, 11
	s_mov_b32 s1, 0x3fe00000
	v_fma_f64 v[31:32], -v[29:30], v[29:30], v[25:26]
	v_fma_f64 v[23:24], v[21:22], v[23:24], s[0:1]
	s_mov_b32 s0, 0xaca809cb
	s_mov_b32 s1, 0x3fe9be62
	v_fma_f64 v[7:8], v[7:8], v[19:20], -v[17:18]
	v_fma_f64 v[19:20], v[31:32], v[27:28], v[29:30]
	v_fma_f64 v[23:24], v[21:22], v[23:24], 1.0
	v_add_f64 v[7:8], v[7:8], s[0:1]
	s_mov_b32 s0, 0
	s_mov_b32 s1, 0x40900000
	v_fma_f64 v[29:30], -v[19:20], v[19:20], v[25:26]
	v_fma_f64 v[21:22], v[21:22], v[23:24], 1.0
	v_cmp_ngt_f64_e64 s[0:1], |v[11:12]|, s[0:1]
	v_add_f64 v[7:8], v[7:8], -v[17:18]
	v_fma_f64 v[15:16], v[29:30], v[27:28], v[19:20]
	v_ldexp_f64 v[17:18], v[21:22], v9
	v_mov_b32_e32 v9, 0xffffff80
	v_mov_b32_e32 v19, 0x260
	v_cndmask_b32_e32 v9, 0, v9, vcc
	v_mul_f64 v[7:8], v[7:8], 0.5
	v_cmp_class_f64_e32 vcc, v[25:26], v19
	v_ldexp_f64 v[11:12], v[15:16], v9
	v_cndmask_b32_e64 v16, v13, v18, s[0:1]
	v_cndmask_b32_e64 v15, 0, v17, s[0:1]
	v_mul_f64 v[7:8], v[15:16], v[7:8]
	v_cndmask_b32_e32 v12, v12, v26, vcc
	v_cndmask_b32_e32 v11, v11, v25, vcc
	v_div_scale_f64 v[15:16], s[0:1], v[11:12], v[11:12], v[7:8]
	v_div_scale_f64 v[21:22], vcc, v[7:8], v[11:12], v[7:8]
	v_rcp_f64_e32 v[17:18], v[15:16]
	v_fma_f64 v[19:20], -v[15:16], v[17:18], 1.0
	v_fma_f64 v[17:18], v[17:18], v[19:20], v[17:18]
	v_fma_f64 v[19:20], -v[15:16], v[17:18], 1.0
	v_fma_f64 v[17:18], v[17:18], v[19:20], v[17:18]
	v_mul_f64 v[19:20], v[21:22], v[17:18]
	v_fma_f64 v[15:16], -v[15:16], v[19:20], v[21:22]
	v_div_fmas_f64 v[15:16], v[15:16], v[17:18], v[19:20]
	v_div_fixup_f64 v[8:9], v[15:16], v[11:12], v[7:8]
.LBB9_1553:
	s_or_b64 exec, exec, s[4:5]
	v_mov_b32_e32 v7, s11
	v_add_co_u32_e32 v11, vcc, s10, v3
	s_cmp_lt_i32 s17, 11
	v_addc_co_u32_e32 v12, vcc, 0, v7, vcc
	s_cbranch_scc1 .LBB9_1560
; %bb.1554:
	s_and_b32 s14, 0xffff, s17
	s_cmp_gt_i32 s14, 25
	s_mov_b64 s[4:5], 0
	s_cbranch_scc0 .LBB9_1561
; %bb.1555:
	s_cmp_gt_i32 s14, 28
	s_cbranch_scc0 .LBB9_1562
; %bb.1556:
	s_cmp_gt_i32 s14, 43
	;; [unrolled: 3-line block ×3, first 2 shown]
	s_cbranch_scc0 .LBB9_1565
; %bb.1558:
	s_cmp_eq_u32 s14, 46
	s_mov_b64 s[10:11], 0
	s_cbranch_scc0 .LBB9_1566
; %bb.1559:
	global_load_dword v3, v[11:12], off
	s_mov_b64 s[0:1], 0
	s_mov_b64 s[6:7], -1
	s_waitcnt vmcnt(0)
	v_lshlrev_b32_e32 v3, 16, v3
	v_cvt_f64_f32_e32 v[15:16], v3
	s_branch .LBB9_1567
.LBB9_1560:
	s_mov_b64 s[0:1], -1
	s_mov_b64 s[6:7], 0
                                        ; implicit-def: $vgpr15_vgpr16
	s_branch .LBB9_1633
.LBB9_1561:
	s_mov_b64 s[10:11], -1
	s_mov_b64 s[6:7], 0
	s_mov_b64 s[0:1], 0
                                        ; implicit-def: $vgpr15_vgpr16
	s_branch .LBB9_1598
.LBB9_1562:
	s_mov_b64 s[10:11], -1
	s_mov_b64 s[6:7], 0
	s_mov_b64 s[0:1], 0
                                        ; implicit-def: $vgpr15_vgpr16
	s_branch .LBB9_1577
.LBB9_1563:
	s_mov_b64 s[10:11], -1
	s_mov_b64 s[6:7], 0
	s_mov_b64 s[0:1], 0
                                        ; implicit-def: $vgpr15_vgpr16
	s_branch .LBB9_1572
.LBB9_1564:
	s_trap 2
	s_or_b64 s[2:3], s[2:3], exec
	s_cbranch_execz .LBB9_1499
	s_branch .LBB9_1500
.LBB9_1565:
	s_mov_b64 s[10:11], -1
	s_mov_b64 s[6:7], 0
	s_mov_b64 s[0:1], 0
                                        ; implicit-def: $vgpr15_vgpr16
	s_branch .LBB9_1567
.LBB9_1566:
	s_mov_b64 s[0:1], -1
                                        ; implicit-def: $vgpr15_vgpr16
	s_mov_b64 s[6:7], 0
.LBB9_1567:
	s_and_b64 vcc, exec, s[10:11]
	s_cbranch_vccz .LBB9_1571
; %bb.1568:
	s_cmp_eq_u32 s14, 44
	s_cbranch_scc0 .LBB9_1570
; %bb.1569:
	global_load_ubyte v3, v[11:12], off
	s_movk_i32 s6, 0xff
	v_bfrev_b32_e32 v7, 4
	v_mov_b32_e32 v13, 0x7ff80000
	v_bfrev_b32_e32 v17, 28
	s_mov_b64 s[0:1], 0
	s_waitcnt vmcnt(0)
	v_lshlrev_b32_e32 v15, 23, v3
	v_cvt_f64_f32_e32 v[15:16], v15
	v_cmp_ne_u32_e32 vcc, s6, v3
	s_mov_b64 s[6:7], -1
	v_cndmask_b32_e32 v7, v7, v15, vcc
	v_cndmask_b32_e32 v13, v13, v16, vcc
	v_cmp_ne_u32_e32 vcc, 0, v3
	v_cndmask_b32_e32 v16, v17, v13, vcc
	v_cndmask_b32_e32 v15, 0, v7, vcc
	s_branch .LBB9_1571
.LBB9_1570:
	s_mov_b64 s[0:1], -1
                                        ; implicit-def: $vgpr15_vgpr16
.LBB9_1571:
	s_mov_b64 s[10:11], 0
.LBB9_1572:
	s_and_b64 vcc, exec, s[10:11]
	s_cbranch_vccz .LBB9_1576
; %bb.1573:
	s_cmp_eq_u32 s14, 29
	s_cbranch_scc0 .LBB9_1575
; %bb.1574:
	global_load_dwordx2 v[15:16], v[11:12], off
	s_mov_b64 s[0:1], 0
	s_mov_b64 s[6:7], -1
	s_mov_b64 s[10:11], 0
	s_waitcnt vmcnt(0)
	v_cvt_f64_u32_e32 v[16:17], v16
	v_cvt_f64_u32_e32 v[18:19], v15
	v_ldexp_f64 v[16:17], v[16:17], 32
	v_add_f64 v[15:16], v[16:17], v[18:19]
	s_branch .LBB9_1577
.LBB9_1575:
	s_mov_b64 s[0:1], -1
                                        ; implicit-def: $vgpr15_vgpr16
.LBB9_1576:
	s_mov_b64 s[10:11], 0
.LBB9_1577:
	s_and_b64 vcc, exec, s[10:11]
	s_cbranch_vccz .LBB9_1597
; %bb.1578:
	s_cmp_lt_i32 s14, 27
	s_cbranch_scc1 .LBB9_1581
; %bb.1579:
	s_cmp_gt_i32 s14, 27
	s_cbranch_scc0 .LBB9_1582
; %bb.1580:
	global_load_dword v3, v[11:12], off
	s_mov_b64 s[6:7], 0
	s_waitcnt vmcnt(0)
	v_cvt_f64_u32_e32 v[15:16], v3
	s_branch .LBB9_1583
.LBB9_1581:
	s_mov_b64 s[6:7], -1
                                        ; implicit-def: $vgpr15_vgpr16
	s_branch .LBB9_1586
.LBB9_1582:
	s_mov_b64 s[6:7], -1
                                        ; implicit-def: $vgpr15_vgpr16
.LBB9_1583:
	s_andn2_b64 vcc, exec, s[6:7]
	s_cbranch_vccnz .LBB9_1585
; %bb.1584:
	global_load_ushort v3, v[11:12], off
	s_waitcnt vmcnt(0)
	v_cvt_f64_u32_e32 v[15:16], v3
.LBB9_1585:
	s_mov_b64 s[6:7], 0
.LBB9_1586:
	s_andn2_b64 vcc, exec, s[6:7]
	s_cbranch_vccnz .LBB9_1596
; %bb.1587:
	global_load_ubyte v3, v[11:12], off
	s_movk_i32 s6, 0x7f
	s_waitcnt vmcnt(0)
	v_cmp_lt_i16_e32 vcc, s6, v3
	s_mov_b64 s[6:7], 0
	s_and_saveexec_b64 s[10:11], vcc
	s_xor_b64 s[10:11], exec, s[10:11]
	s_cbranch_execz .LBB9_1591
; %bb.1588:
	s_movk_i32 s6, 0x80
	v_cmp_eq_u16_e32 vcc, s6, v3
	s_mov_b64 s[6:7], -1
	s_and_saveexec_b64 s[12:13], vcc
; %bb.1589:
	s_xor_b64 s[6:7], exec, -1
; %bb.1590:
	s_or_b64 exec, exec, s[12:13]
	s_and_b64 s[6:7], s[6:7], exec
.LBB9_1591:
	s_or_saveexec_b64 s[10:11], s[10:11]
	v_bfrev_b32_e32 v15, 4
	v_mov_b32_e32 v16, 0x7ff80000
	s_xor_b64 exec, exec, s[10:11]
; %bb.1592:
	v_cmp_ne_u16_e32 vcc, 0, v3
	v_mov_b32_e32 v15, 0
	s_andn2_b64 s[6:7], s[6:7], exec
	s_and_b64 s[12:13], vcc, exec
	v_mov_b32_e32 v16, 0
	s_or_b64 s[6:7], s[6:7], s[12:13]
; %bb.1593:
	s_or_b64 exec, exec, s[10:11]
	s_and_saveexec_b64 s[10:11], s[6:7]
	s_cbranch_execz .LBB9_1595
; %bb.1594:
	v_lshlrev_b32_e32 v7, 24, v3
	v_and_b32_e32 v3, 0xffff, v3
	v_and_b32_e32 v13, 7, v3
	v_ffbh_u32_e32 v16, v13
	v_min_u32_e32 v16, 32, v16
	v_subrev_u32_e32 v17, 28, v16
	v_bfe_u32 v15, v3, 3, 4
	v_lshlrev_b32_e32 v3, v17, v3
	v_sub_u32_e32 v16, 29, v16
	v_and_b32_e32 v3, 7, v3
	v_cmp_eq_u32_e32 vcc, 0, v15
	v_cndmask_b32_e32 v15, v15, v16, vcc
	v_cndmask_b32_e32 v3, v13, v3, vcc
	v_mov_b32_e32 v13, 0x3b800000
	v_lshlrev_b32_e32 v3, 20, v3
	v_and_b32_e32 v7, 0x80000000, v7
	v_lshl_add_u32 v13, v15, 23, v13
	v_or3_b32 v3, v7, v13, v3
	v_cvt_f64_f32_e32 v[15:16], v3
.LBB9_1595:
	s_or_b64 exec, exec, s[10:11]
.LBB9_1596:
	s_mov_b64 s[6:7], -1
.LBB9_1597:
	s_mov_b64 s[10:11], 0
.LBB9_1598:
	s_and_b64 vcc, exec, s[10:11]
	s_cbranch_vccz .LBB9_1629
; %bb.1599:
	s_cmp_gt_i32 s14, 22
	s_cbranch_scc0 .LBB9_1611
; %bb.1600:
	s_cmp_lt_i32 s14, 24
	s_cbranch_scc1 .LBB9_1612
; %bb.1601:
	s_cmp_gt_i32 s14, 24
	s_cbranch_scc0 .LBB9_1613
; %bb.1602:
	global_load_ubyte v3, v[11:12], off
	s_movk_i32 s4, 0x7f
	s_waitcnt vmcnt(0)
	v_cmp_lt_i16_e32 vcc, s4, v3
	s_mov_b64 s[4:5], 0
	s_and_saveexec_b64 s[6:7], vcc
	s_xor_b64 s[6:7], exec, s[6:7]
	s_cbranch_execz .LBB9_1606
; %bb.1603:
	s_movk_i32 s4, 0x80
	v_cmp_eq_u16_e32 vcc, s4, v3
	s_mov_b64 s[4:5], -1
	s_and_saveexec_b64 s[10:11], vcc
; %bb.1604:
	s_xor_b64 s[4:5], exec, -1
; %bb.1605:
	s_or_b64 exec, exec, s[10:11]
	s_and_b64 s[4:5], s[4:5], exec
.LBB9_1606:
	s_or_saveexec_b64 s[6:7], s[6:7]
	v_bfrev_b32_e32 v15, 4
	v_mov_b32_e32 v16, 0x7ff80000
	s_xor_b64 exec, exec, s[6:7]
; %bb.1607:
	v_cmp_ne_u16_e32 vcc, 0, v3
	v_mov_b32_e32 v15, 0
	s_andn2_b64 s[4:5], s[4:5], exec
	s_and_b64 s[10:11], vcc, exec
	v_mov_b32_e32 v16, 0
	s_or_b64 s[4:5], s[4:5], s[10:11]
; %bb.1608:
	s_or_b64 exec, exec, s[6:7]
	s_and_saveexec_b64 s[6:7], s[4:5]
	s_cbranch_execz .LBB9_1610
; %bb.1609:
	v_lshlrev_b32_e32 v7, 24, v3
	v_and_b32_e32 v3, 0xffff, v3
	v_and_b32_e32 v13, 3, v3
	v_ffbh_u32_e32 v16, v13
	v_min_u32_e32 v16, 32, v16
	v_subrev_u32_e32 v17, 29, v16
	v_bfe_u32 v15, v3, 2, 5
	v_lshlrev_b32_e32 v3, v17, v3
	v_sub_u32_e32 v16, 30, v16
	v_and_b32_e32 v3, 3, v3
	v_cmp_eq_u32_e32 vcc, 0, v15
	v_cndmask_b32_e32 v15, v15, v16, vcc
	v_cndmask_b32_e32 v3, v13, v3, vcc
	v_mov_b32_e32 v13, 0x37800000
	v_lshlrev_b32_e32 v3, 21, v3
	v_and_b32_e32 v7, 0x80000000, v7
	v_lshl_add_u32 v13, v15, 23, v13
	v_or3_b32 v3, v7, v13, v3
	v_cvt_f64_f32_e32 v[15:16], v3
.LBB9_1610:
	s_or_b64 exec, exec, s[6:7]
	s_mov_b64 s[4:5], 0
	s_branch .LBB9_1614
.LBB9_1611:
	s_mov_b64 s[4:5], -1
                                        ; implicit-def: $vgpr15_vgpr16
	s_branch .LBB9_1620
.LBB9_1612:
	s_mov_b64 s[4:5], -1
                                        ; implicit-def: $vgpr15_vgpr16
	s_branch .LBB9_1617
.LBB9_1613:
	s_mov_b64 s[4:5], -1
                                        ; implicit-def: $vgpr15_vgpr16
.LBB9_1614:
	s_and_b64 vcc, exec, s[4:5]
	s_cbranch_vccz .LBB9_1616
; %bb.1615:
	global_load_ubyte v3, v[11:12], off
	s_mov_b32 s4, 0x7f800000
	s_waitcnt vmcnt(0)
	v_lshlrev_b32_e32 v3, 24, v3
	v_and_b32_e32 v7, 0x7f000000, v3
	v_ffbh_u32_e32 v13, v7
	v_min_u32_e32 v13, 32, v13
	v_sub_u32_e64 v13, v13, 4 clamp
	v_lshlrev_b32_e32 v16, v13, v7
	v_lshlrev_b32_e32 v13, 23, v13
	v_lshrrev_b32_e32 v16, 4, v16
	v_add_u32_e32 v15, 0x1000000, v7
	v_sub_u32_e32 v13, v16, v13
	v_ashrrev_i32_e32 v15, 8, v15
	v_add_u32_e32 v13, 0x3c000000, v13
	v_and_or_b32 v13, v15, s4, v13
	v_cmp_ne_u32_e32 vcc, 0, v7
	v_cndmask_b32_e32 v7, 0, v13, vcc
	s_brev_b32 s4, 1
	v_and_or_b32 v3, v3, s4, v7
	v_cvt_f64_f32_e32 v[15:16], v3
.LBB9_1616:
	s_mov_b64 s[4:5], 0
.LBB9_1617:
	s_andn2_b64 vcc, exec, s[4:5]
	s_cbranch_vccnz .LBB9_1619
; %bb.1618:
	global_load_ubyte v3, v[11:12], off
	s_movk_i32 s4, 0x7f00
	s_brev_b32 s5, 16
	s_waitcnt vmcnt(0)
	v_lshlrev_b16_e32 v7, 8, v3
	v_lshlrev_b32_e32 v3, 25, v3
	v_lshrrev_b32_e32 v13, 4, v3
	v_and_or_b32 v15, v7, s4, 0.5
	v_or_b32_e32 v13, 0x70000000, v13
	v_add_f32_e32 v15, -0.5, v15
	v_mul_f32_e32 v13, 0x7800000, v13
	v_cmp_gt_u32_e32 vcc, s5, v3
	v_bfe_i32 v7, v7, 0, 16
	v_cndmask_b32_e32 v3, v13, v15, vcc
	s_brev_b32 s4, 1
	v_and_or_b32 v3, v7, s4, v3
	v_cvt_f64_f32_e32 v[15:16], v3
.LBB9_1619:
	s_mov_b64 s[4:5], 0
	s_mov_b64 s[6:7], -1
.LBB9_1620:
	s_andn2_b64 vcc, exec, s[4:5]
	s_mov_b64 s[4:5], 0
	s_cbranch_vccnz .LBB9_1629
; %bb.1621:
	s_cmp_gt_i32 s14, 14
	s_cbranch_scc0 .LBB9_1624
; %bb.1622:
	s_cmp_eq_u32 s14, 15
	s_cbranch_scc0 .LBB9_1625
; %bb.1623:
	global_load_ushort v3, v[11:12], off
	s_mov_b64 s[0:1], 0
	s_mov_b64 s[6:7], -1
	s_waitcnt vmcnt(0)
	v_lshlrev_b32_e32 v3, 16, v3
	v_cvt_f64_f32_e32 v[15:16], v3
	s_branch .LBB9_1626
.LBB9_1624:
	s_mov_b64 s[10:11], -1
                                        ; implicit-def: $vgpr15_vgpr16
	s_branch .LBB9_1627
.LBB9_1625:
	s_mov_b64 s[0:1], -1
                                        ; implicit-def: $vgpr15_vgpr16
.LBB9_1626:
	s_mov_b64 s[10:11], 0
.LBB9_1627:
	s_and_b64 vcc, exec, s[10:11]
	s_cbranch_vccz .LBB9_1629
; %bb.1628:
	s_cmp_lg_u32 s14, 11
	s_mov_b64 s[4:5], -1
	s_cselect_b64 s[0:1], -1, 0
.LBB9_1629:
	s_and_b64 vcc, exec, s[0:1]
	s_cbranch_vccnz .LBB9_2168
; %bb.1630:
	s_andn2_b64 vcc, exec, s[4:5]
	s_cbranch_vccnz .LBB9_1632
.LBB9_1631:
	global_load_ubyte v3, v[11:12], off
	v_mov_b32_e32 v7, 0x3ff00000
	v_mov_b32_e32 v15, 0
	s_mov_b64 s[6:7], -1
	s_waitcnt vmcnt(0)
	v_cmp_ne_u16_e32 vcc, 0, v3
	v_cndmask_b32_e32 v16, 0, v7, vcc
.LBB9_1632:
	s_mov_b64 s[0:1], 0
.LBB9_1633:
	s_and_b64 vcc, exec, s[0:1]
	s_cbranch_vccz .LBB9_1682
; %bb.1634:
	s_and_b32 s4, 0xffff, s17
	s_cmp_lt_i32 s4, 5
	s_cbranch_scc1 .LBB9_1639
; %bb.1635:
	s_cmp_lt_i32 s4, 8
	s_cbranch_scc1 .LBB9_1640
; %bb.1636:
	;; [unrolled: 3-line block ×3, first 2 shown]
	s_cmp_gt_i32 s4, 9
	s_cbranch_scc0 .LBB9_1642
; %bb.1638:
	global_load_dwordx2 v[15:16], v[11:12], off
	s_mov_b64 s[0:1], 0
	s_branch .LBB9_1643
.LBB9_1639:
	s_mov_b64 s[0:1], -1
                                        ; implicit-def: $vgpr15_vgpr16
	s_branch .LBB9_1661
.LBB9_1640:
	s_mov_b64 s[0:1], -1
                                        ; implicit-def: $vgpr15_vgpr16
	s_branch .LBB9_1649
.LBB9_1641:
	s_mov_b64 s[0:1], -1
                                        ; implicit-def: $vgpr15_vgpr16
	s_branch .LBB9_1646
.LBB9_1642:
	s_mov_b64 s[0:1], -1
                                        ; implicit-def: $vgpr15_vgpr16
.LBB9_1643:
	s_andn2_b64 vcc, exec, s[0:1]
	s_cbranch_vccnz .LBB9_1645
; %bb.1644:
	global_load_dword v3, v[11:12], off
	s_waitcnt vmcnt(0)
	v_cvt_f64_f32_e32 v[15:16], v3
.LBB9_1645:
	s_mov_b64 s[0:1], 0
.LBB9_1646:
	s_andn2_b64 vcc, exec, s[0:1]
	s_cbranch_vccnz .LBB9_1648
; %bb.1647:
	global_load_dword v3, v[11:12], off
	s_waitcnt vmcnt(0)
	v_cvt_f32_f16_e32 v3, v3
	v_cvt_f64_f32_e32 v[15:16], v3
.LBB9_1648:
	s_mov_b64 s[0:1], 0
.LBB9_1649:
	s_andn2_b64 vcc, exec, s[0:1]
	s_cbranch_vccnz .LBB9_1660
; %bb.1650:
	s_cmp_lt_i32 s4, 6
	s_cbranch_scc1 .LBB9_1653
; %bb.1651:
	s_cmp_gt_i32 s4, 6
	s_cbranch_scc0 .LBB9_1654
; %bb.1652:
	global_load_dwordx2 v[15:16], v[11:12], off
	s_mov_b64 s[0:1], 0
	s_branch .LBB9_1655
.LBB9_1653:
	s_mov_b64 s[0:1], -1
                                        ; implicit-def: $vgpr15_vgpr16
	s_branch .LBB9_1658
.LBB9_1654:
	s_mov_b64 s[0:1], -1
                                        ; implicit-def: $vgpr15_vgpr16
.LBB9_1655:
	s_andn2_b64 vcc, exec, s[0:1]
	s_cbranch_vccnz .LBB9_1657
; %bb.1656:
	global_load_dword v3, v[11:12], off
	s_waitcnt vmcnt(0)
	v_cvt_f64_f32_e32 v[15:16], v3
.LBB9_1657:
	s_mov_b64 s[0:1], 0
.LBB9_1658:
	s_andn2_b64 vcc, exec, s[0:1]
	s_cbranch_vccnz .LBB9_1660
; %bb.1659:
	global_load_ushort v3, v[11:12], off
	s_waitcnt vmcnt(0)
	v_cvt_f32_f16_e32 v3, v3
	v_cvt_f64_f32_e32 v[15:16], v3
.LBB9_1660:
	s_mov_b64 s[0:1], 0
.LBB9_1661:
	s_andn2_b64 vcc, exec, s[0:1]
	s_cbranch_vccnz .LBB9_1681
; %bb.1662:
	s_cmp_lt_i32 s4, 2
	s_cbranch_scc1 .LBB9_1666
; %bb.1663:
	s_cmp_lt_i32 s4, 3
	s_cbranch_scc1 .LBB9_1667
; %bb.1664:
	s_cmp_gt_i32 s4, 3
	s_cbranch_scc0 .LBB9_1668
; %bb.1665:
	global_load_dwordx2 v[15:16], v[11:12], off
	s_mov_b64 s[0:1], 0
	s_waitcnt vmcnt(0)
	v_cvt_f64_i32_e32 v[16:17], v16
	v_cvt_f64_u32_e32 v[18:19], v15
	v_ldexp_f64 v[16:17], v[16:17], 32
	v_add_f64 v[15:16], v[16:17], v[18:19]
	s_branch .LBB9_1669
.LBB9_1666:
	s_mov_b64 s[0:1], -1
                                        ; implicit-def: $vgpr15_vgpr16
	s_branch .LBB9_1675
.LBB9_1667:
	s_mov_b64 s[0:1], -1
                                        ; implicit-def: $vgpr15_vgpr16
	s_branch .LBB9_1672
.LBB9_1668:
	s_mov_b64 s[0:1], -1
                                        ; implicit-def: $vgpr15_vgpr16
.LBB9_1669:
	s_andn2_b64 vcc, exec, s[0:1]
	s_cbranch_vccnz .LBB9_1671
; %bb.1670:
	global_load_dword v3, v[11:12], off
	s_waitcnt vmcnt(0)
	v_cvt_f64_i32_e32 v[15:16], v3
.LBB9_1671:
	s_mov_b64 s[0:1], 0
.LBB9_1672:
	s_andn2_b64 vcc, exec, s[0:1]
	s_cbranch_vccnz .LBB9_1674
; %bb.1673:
	global_load_sshort v3, v[11:12], off
	s_waitcnt vmcnt(0)
	v_cvt_f64_i32_e32 v[15:16], v3
.LBB9_1674:
	s_mov_b64 s[0:1], 0
.LBB9_1675:
	s_andn2_b64 vcc, exec, s[0:1]
	s_cbranch_vccnz .LBB9_1681
; %bb.1676:
	s_cmp_gt_i32 s4, 0
	s_cbranch_scc0 .LBB9_1678
; %bb.1677:
	global_load_sbyte v3, v[11:12], off
	s_mov_b64 s[0:1], 0
	s_waitcnt vmcnt(0)
	v_cvt_f64_i32_e32 v[15:16], v3
	s_branch .LBB9_1679
.LBB9_1678:
	s_mov_b64 s[0:1], -1
                                        ; implicit-def: $vgpr15_vgpr16
.LBB9_1679:
	s_andn2_b64 vcc, exec, s[0:1]
	s_cbranch_vccnz .LBB9_1681
; %bb.1680:
	global_load_ubyte v3, v[11:12], off
	s_waitcnt vmcnt(0)
	v_cvt_f64_u32_e32 v[15:16], v3
.LBB9_1681:
	s_mov_b64 s[6:7], -1
.LBB9_1682:
	s_andn2_b64 vcc, exec, s[6:7]
	s_cbranch_vccnz .LBB9_1765
; %bb.1683:
	s_mov_b32 s0, 0
	s_mov_b32 s1, 0x40200000
	s_waitcnt vmcnt(0)
	v_cmp_le_f64_e64 s[0:1], |v[15:16]|, s[0:1]
                                        ; implicit-def: $vgpr12_vgpr13
	s_and_saveexec_b64 s[4:5], s[0:1]
	s_xor_b64 s[0:1], exec, s[4:5]
	s_cbranch_execz .LBB9_1685
; %bb.1684:
	v_fma_f64 v[11:12], |v[15:16]|, 0.5, -2.0
	v_mov_b32_e32 v17, 0x977da589
	v_mov_b32_e32 v18, 0x3c833362
	s_mov_b32 s5, 0xbc545cb7
	s_mov_b32 s4, 0x2134d0ef
	;; [unrolled: 1-line block ×4, first 2 shown]
	v_mov_b32_e32 v23, 0xfca7ab0c
	v_fma_f64 v[17:18], v[11:12], s[4:5], v[17:18]
	s_mov_b32 s5, 0x3c545cb7
	v_mov_b32_e32 v24, 0x3e928af3
	v_fma_f64 v[19:20], v[11:12], v[17:18], s[4:5]
	s_mov_b32 s4, 0x721ebbb4
	s_mov_b32 s5, 0xbcb184eb
	v_add_f64 v[19:20], v[19:20], s[4:5]
	s_mov_b32 s4, 0x93f65eba
	s_mov_b32 s5, 0x3cdee6d8
	v_fma_f64 v[17:18], v[11:12], v[19:20], -v[17:18]
	v_add_f64 v[17:18], v[17:18], s[4:5]
	s_mov_b32 s4, 0xc297fbeb
	s_mov_b32 s5, 0xbd0a5022
	v_fma_f64 v[19:20], v[11:12], v[17:18], -v[19:20]
	;; [unrolled: 4-line block ×20, first 2 shown]
	v_add_f64 v[19:20], v[19:20], s[4:5]
	s_mov_b32 s4, 0x652b82fe
	s_mov_b32 s5, 0x3ff71547
	v_mul_f64 v[21:22], |v[15:16]|, s[4:5]
	s_mov_b32 s4, 0xf3dde3dd
	s_mov_b32 s5, 0x3f859961
	v_fma_f64 v[17:18], v[11:12], v[19:20], -v[17:18]
	v_rndne_f64_e32 v[21:22], v[21:22]
	v_add_f64 v[17:18], v[17:18], s[4:5]
	s_mov_b32 s4, 0xfefa39ef
	s_mov_b32 s5, 0xbfe62e42
	v_fma_f64 v[15:16], v[21:22], s[4:5], |v[15:16]|
	s_mov_b32 s4, 0xf121b6f0
	s_mov_b32 s5, 0xbf984e9e
	v_cvt_i32_f64_e32 v3, v[21:22]
	v_fma_f64 v[19:20], v[11:12], v[17:18], -v[19:20]
	v_fma_f64 v[15:16], v[21:22], s[6:7], v[15:16]
	s_mov_b32 s6, 0x623fde64
	s_mov_b32 s7, 0x3ec71dee
	v_add_f64 v[19:20], v[19:20], s[4:5]
	s_mov_b32 s4, 0x6a5dcb37
	s_mov_b32 s5, 0x3e5ade15
	v_fma_f64 v[23:24], v[15:16], s[4:5], v[23:24]
	s_mov_b32 s4, 0xcea8a32d
	s_mov_b32 s5, 0x3fa93e8a
	v_fma_f64 v[17:18], v[11:12], v[19:20], -v[17:18]
	v_fma_f64 v[23:24], v[15:16], v[23:24], s[6:7]
	s_mov_b32 s6, 0x14761f6e
	s_mov_b32 s7, 0x3f2a01a0
	v_add_f64 v[17:18], v[17:18], s[4:5]
	s_mov_b32 s4, 0x7c89e6b0
	s_mov_b32 s5, 0x3efa0199
	v_fma_f64 v[23:24], v[15:16], v[23:24], s[4:5]
	s_mov_b32 s4, 0x342d06ea
	s_mov_b32 s5, 0xbfb84b70
	;; [unrolled: 10-line block ×4, first 2 shown]
	v_fma_f64 v[19:20], v[11:12], v[17:18], -v[19:20]
	v_fma_f64 v[23:24], v[15:16], v[23:24], s[6:7]
	v_add_f64 v[19:20], v[19:20], s[4:5]
	s_mov_b32 s4, 11
	s_mov_b32 s5, 0x3fe00000
	v_fma_f64 v[23:24], v[15:16], v[23:24], s[4:5]
	s_mov_b32 s4, 0x9035a22a
	s_mov_b32 s5, 0x3fe5a84e
	v_fma_f64 v[11:12], v[11:12], v[19:20], -v[17:18]
	v_fma_f64 v[19:20], v[15:16], v[23:24], 1.0
	v_add_f64 v[11:12], v[11:12], s[4:5]
	v_fma_f64 v[15:16], v[15:16], v[19:20], 1.0
	v_add_f64 v[11:12], v[11:12], -v[17:18]
	v_ldexp_f64 v[15:16], v[15:16], v3
	v_mul_f64 v[11:12], v[11:12], 0.5
	v_mul_f64 v[12:13], v[15:16], v[11:12]
                                        ; implicit-def: $vgpr15_vgpr16
.LBB9_1685:
	s_andn2_saveexec_b64 s[4:5], s[0:1]
	s_cbranch_execz .LBB9_1687
; %bb.1686:
	s_mov_b32 s0, 0
	v_and_b32_e32 v12, 0x7fffffff, v16
	v_mov_b32_e32 v11, v15
	s_mov_b32 s1, 0x40400000
	v_div_scale_f64 v[17:18], s[6:7], v[11:12], v[11:12], s[0:1]
	v_div_scale_f64 v[11:12], vcc, s[0:1], v[11:12], s[0:1]
	s_mov_b32 s6, 0x3b39803f
	s_mov_b32 s7, 0xbc7abc9e
	v_mov_b32_e32 v25, 0xfca7ab0c
	v_mov_b32_e32 v26, 0x3e928af3
	s_mov_b32 s10, 0x623fde64
	s_mov_b32 s11, 0x3ec71dee
	v_mov_b32_e32 v3, 0x100
	v_mov_b32_e32 v7, 0x7ff00000
	;; [unrolled: 1-line block ×3, first 2 shown]
	v_rcp_f64_e32 v[19:20], v[17:18]
	v_fma_f64 v[21:22], -v[17:18], v[19:20], 1.0
	v_fma_f64 v[19:20], v[19:20], v[21:22], v[19:20]
	v_fma_f64 v[21:22], -v[17:18], v[19:20], 1.0
	v_fma_f64 v[19:20], v[19:20], v[21:22], v[19:20]
	v_mul_f64 v[21:22], v[11:12], v[19:20]
	v_fma_f64 v[11:12], -v[17:18], v[21:22], v[11:12]
	v_mov_b32_e32 v17, 0x66119130
	v_mov_b32_e32 v18, 0xbc5646da
	v_div_fmas_f64 v[11:12], v[11:12], v[19:20], v[21:22]
	v_div_fixup_f64 v[11:12], v[11:12], |v[15:16]|, s[0:1]
	s_mov_b32 s1, 0xbc60adb7
	s_mov_b32 s0, 0x54ca8b19
	v_add_f64 v[11:12], v[11:12], -2.0
	v_fma_f64 v[17:18], v[11:12], s[0:1], v[17:18]
	s_mov_b32 s1, 0x3c60adb7
	v_fma_f64 v[19:20], v[11:12], v[17:18], s[0:1]
	s_mov_b32 s0, 0x12d98421
	s_mov_b32 s1, 0x3c89be18
	v_add_f64 v[19:20], v[19:20], s[0:1]
	s_mov_b32 s0, 0x76041cd
	s_mov_b32 s1, 0x3c83f3dd
	v_fma_f64 v[17:18], v[11:12], v[19:20], -v[17:18]
	v_add_f64 v[17:18], v[17:18], s[0:1]
	s_mov_b32 s0, 0xabd21fe4
	s_mov_b32 s1, 0xbcb4600b
	v_fma_f64 v[19:20], v[11:12], v[17:18], -v[19:20]
	v_add_f64 v[19:20], v[19:20], s[0:1]
	s_mov_b32 s0, 0xd908de38
	s_mov_b32 s1, 0xbcb8aee7
	v_fma_f64 v[17:18], v[11:12], v[19:20], -v[17:18]
	v_add_f64 v[17:18], v[17:18], s[0:1]
	s_mov_b32 s0, 0xa3eafb1f
	s_mov_b32 s1, 0x3cdfee7d
	v_fma_f64 v[19:20], v[11:12], v[17:18], -v[19:20]
	v_add_f64 v[19:20], v[19:20], s[0:1]
	s_mov_b32 s0, 0x9094e6d7
	s_mov_b32 s1, 0x3cf12a91
	v_fma_f64 v[17:18], v[11:12], v[19:20], -v[17:18]
	v_add_f64 v[17:18], v[17:18], s[0:1]
	s_mov_b32 s0, 0x7e65629a
	s_mov_b32 s1, 0xbd0583fe
	v_fma_f64 v[19:20], v[11:12], v[17:18], -v[19:20]
	v_add_f64 v[19:20], v[19:20], s[0:1]
	s_mov_b32 s0, 0xcf68bb32
	s_mov_b32 s1, 0xbd275d99
	v_fma_f64 v[17:18], v[11:12], v[19:20], -v[17:18]
	v_add_f64 v[17:18], v[17:18], s[0:1]
	s_mov_b32 s0, 0xd5fc545
	s_mov_b32 s1, 0x3d1156ff
	v_fma_f64 v[19:20], v[11:12], v[17:18], -v[19:20]
	v_add_f64 v[19:20], v[19:20], s[0:1]
	s_mov_b32 s0, 0x6b83c073
	s_mov_b32 s1, 0x3d5b1c8c
	v_fma_f64 v[17:18], v[11:12], v[19:20], -v[17:18]
	v_add_f64 v[17:18], v[17:18], s[0:1]
	s_mov_b32 s0, 0xfa268cec
	s_mov_b32 s1, 0x3d694347
	v_fma_f64 v[19:20], v[11:12], v[17:18], -v[19:20]
	v_add_f64 v[19:20], v[19:20], s[0:1]
	s_mov_b32 s0, 0x3178d66
	s_mov_b32 s1, 0xbd7f9043
	v_fma_f64 v[17:18], v[11:12], v[19:20], -v[17:18]
	v_add_f64 v[17:18], v[17:18], s[0:1]
	s_mov_b32 s0, 0x357e7bf2
	s_mov_b32 s1, 0xbdad0fd7
	v_fma_f64 v[19:20], v[11:12], v[17:18], -v[19:20]
	v_add_f64 v[19:20], v[19:20], s[0:1]
	s_mov_b32 s0, 0x8397425
	s_mov_b32 s1, 0xbdc1511d
	v_fma_f64 v[17:18], v[11:12], v[19:20], -v[17:18]
	v_add_f64 v[17:18], v[17:18], s[0:1]
	s_mov_b32 s0, 0xabe8004f
	s_mov_b32 s1, 0x3daa24fe
	v_fma_f64 v[19:20], v[11:12], v[17:18], -v[19:20]
	v_add_f64 v[19:20], v[19:20], s[0:1]
	s_mov_b32 s0, 0xc0f46f75
	s_mov_b32 s1, 0x3e00f9cc
	v_fma_f64 v[17:18], v[11:12], v[19:20], -v[17:18]
	v_add_f64 v[21:22], v[17:18], s[0:1]
	s_mov_b32 s0, 0x652b82fe
	s_mov_b32 s1, 0x3ff71547
	v_mul_f64 v[17:18], |v[15:16]|, s[0:1]
	s_mov_b32 s0, 0xa9225b87
	s_mov_b32 s1, 0x3e2d2c64
	v_fma_f64 v[19:20], v[11:12], v[21:22], -v[19:20]
	v_rndne_f64_e32 v[17:18], v[17:18]
	v_add_f64 v[19:20], v[19:20], s[0:1]
	s_mov_b32 s0, 0xfefa39ef
	s_mov_b32 s1, 0xbfe62e42
	v_fma_f64 v[23:24], v[17:18], s[0:1], |v[15:16]|
	s_mov_b32 s0, 0x80d6d56d
	s_mov_b32 s1, 0x3e585692
	v_fma_f64 v[21:22], v[11:12], v[19:20], -v[21:22]
	v_fma_f64 v[23:24], v[17:18], s[6:7], v[23:24]
	s_mov_b32 s6, 0xd9cd616e
	s_mov_b32 s7, 0x3e8b8007
	v_add_f64 v[21:22], v[21:22], s[0:1]
	s_mov_b32 s0, 0x6a5dcb37
	s_mov_b32 s1, 0x3e5ade15
	v_fma_f64 v[25:26], v[23:24], s[0:1], v[25:26]
	s_mov_b32 s0, 0
	s_brev_b32 s1, 8
	v_cmp_lt_f64_e64 vcc, |v[15:16]|, s[0:1]
	s_mov_b32 s0, 0x7c89e6b0
	v_fma_f64 v[19:20], v[11:12], v[21:22], -v[19:20]
	s_mov_b32 s1, 0x3efa0199
	v_fma_f64 v[25:26], v[23:24], v[25:26], s[10:11]
	v_cndmask_b32_e32 v3, 0, v3, vcc
	v_ldexp_f64 v[27:28], |v[15:16]|, v3
	v_add_f64 v[19:20], v[19:20], s[6:7]
	s_mov_b32 s6, 0x14761f6e
	s_mov_b32 s7, 0x3f2a01a0
	v_fma_f64 v[25:26], v[23:24], v[25:26], s[0:1]
	s_mov_b32 s0, 0xc101c586
	s_mov_b32 s1, 0x3ec8412b
	v_cvt_i32_f64_e32 v3, v[17:18]
	v_rsq_f64_e32 v[29:30], v[27:28]
	v_fma_f64 v[21:22], v[11:12], v[19:20], -v[21:22]
	v_fma_f64 v[25:26], v[23:24], v[25:26], s[6:7]
	s_mov_b32 s6, 0x11122322
	s_mov_b32 s7, 0x3f811111
	v_add_f64 v[21:22], v[21:22], s[0:1]
	s_mov_b32 s0, 0x1852b7b0
	s_mov_b32 s1, 0x3f56c16c
	v_fma_f64 v[25:26], v[23:24], v[25:26], s[0:1]
	s_mov_b32 s0, 0x78999e52
	s_mov_b32 s1, 0x3f120fa3
	v_mul_f64 v[31:32], v[27:28], v[29:30]
	v_fma_f64 v[19:20], v[11:12], v[21:22], -v[19:20]
	v_mul_f64 v[29:30], v[29:30], 0.5
	v_fma_f64 v[25:26], v[23:24], v[25:26], s[6:7]
	s_mov_b32 s6, 0x55555511
	s_mov_b32 s7, 0x3fc55555
	v_add_f64 v[19:20], v[19:20], s[0:1]
	s_mov_b32 s0, 0x555502a1
	s_mov_b32 s1, 0x3fa55555
	v_fma_f64 v[33:34], -v[29:30], v[31:32], 0.5
	v_fma_f64 v[25:26], v[23:24], v[25:26], s[0:1]
	s_mov_b32 s0, 0xa2e59049
	s_mov_b32 s1, 0x3f6b998c
	v_fma_f64 v[21:22], v[11:12], v[19:20], -v[21:22]
	v_fma_f64 v[31:32], v[31:32], v[33:34], v[31:32]
	v_fma_f64 v[25:26], v[23:24], v[25:26], s[6:7]
	;; [unrolled: 1-line block ×3, first 2 shown]
	v_add_f64 v[21:22], v[21:22], s[0:1]
	s_mov_b32 s0, 11
	s_mov_b32 s1, 0x3fe00000
	v_fma_f64 v[33:34], -v[31:32], v[31:32], v[27:28]
	v_fma_f64 v[25:26], v[23:24], v[25:26], s[0:1]
	s_mov_b32 s0, 0xaca809cb
	s_mov_b32 s1, 0x3fe9be62
	v_fma_f64 v[11:12], v[11:12], v[21:22], -v[19:20]
	v_fma_f64 v[21:22], v[33:34], v[29:30], v[31:32]
	v_fma_f64 v[25:26], v[23:24], v[25:26], 1.0
	v_add_f64 v[11:12], v[11:12], s[0:1]
	s_mov_b32 s0, 0
	s_mov_b32 s1, 0x40900000
	v_fma_f64 v[31:32], -v[21:22], v[21:22], v[27:28]
	v_fma_f64 v[23:24], v[23:24], v[25:26], 1.0
	v_cmp_ngt_f64_e64 s[0:1], |v[15:16]|, s[0:1]
	v_add_f64 v[11:12], v[11:12], -v[19:20]
	v_fma_f64 v[17:18], v[31:32], v[29:30], v[21:22]
	v_ldexp_f64 v[19:20], v[23:24], v3
	v_mov_b32_e32 v3, 0xffffff80
	v_cndmask_b32_e32 v3, 0, v3, vcc
	v_cmp_class_f64_e32 vcc, v[27:28], v13
	v_mul_f64 v[11:12], v[11:12], 0.5
	v_ldexp_f64 v[15:16], v[17:18], v3
	v_cndmask_b32_e64 v18, v7, v20, s[0:1]
	v_cndmask_b32_e64 v17, 0, v19, s[0:1]
	v_mul_f64 v[11:12], v[17:18], v[11:12]
	v_cndmask_b32_e32 v16, v16, v28, vcc
	v_cndmask_b32_e32 v15, v15, v27, vcc
	v_div_scale_f64 v[17:18], s[0:1], v[15:16], v[15:16], v[11:12]
	v_div_scale_f64 v[23:24], vcc, v[11:12], v[15:16], v[11:12]
	v_rcp_f64_e32 v[19:20], v[17:18]
	v_fma_f64 v[21:22], -v[17:18], v[19:20], 1.0
	v_fma_f64 v[19:20], v[19:20], v[21:22], v[19:20]
	v_fma_f64 v[21:22], -v[17:18], v[19:20], 1.0
	v_fma_f64 v[19:20], v[19:20], v[21:22], v[19:20]
	v_mul_f64 v[21:22], v[23:24], v[19:20]
	v_fma_f64 v[17:18], -v[17:18], v[21:22], v[23:24]
	v_div_fmas_f64 v[17:18], v[17:18], v[19:20], v[21:22]
	v_div_fixup_f64 v[12:13], v[17:18], v[15:16], v[11:12]
.LBB9_1687:
	s_or_b64 exec, exec, s[4:5]
	s_bfe_u32 s14, s16, 0x80008
	v_mov_b32_e32 v3, s9
	v_add_co_u32_e32 v15, vcc, s8, v2
	s_cmp_lt_i32 s14, 11
	v_addc_co_u32_e32 v16, vcc, 0, v3, vcc
	s_cbranch_scc1 .LBB9_1811
; %bb.1688:
	s_and_b32 s15, 0xffff, s14
	s_mov_b64 s[10:11], -1
	s_mov_b64 s[4:5], 0
	s_cmp_gt_i32 s15, 25
	s_mov_b64 s[6:7], 0
	s_mov_b64 s[0:1], 0
	s_cbranch_scc0 .LBB9_1721
; %bb.1689:
	s_cmp_gt_i32 s15, 28
	s_cbranch_scc0 .LBB9_1704
; %bb.1690:
	s_cmp_gt_i32 s15, 43
	;; [unrolled: 3-line block ×3, first 2 shown]
	s_cbranch_scc0 .LBB9_1694
; %bb.1692:
	s_mov_b64 s[0:1], -1
	s_mov_b64 s[10:11], 0
	s_cmp_eq_u32 s15, 46
	s_cbranch_scc0 .LBB9_1694
; %bb.1693:
	v_cvt_f32_f64_e32 v2, v[0:1]
	s_movk_i32 s0, 0x7fff
	v_mov_b32_e32 v3, 0x7fc0
	s_mov_b64 s[6:7], -1
	v_bfe_u32 v7, v2, 16, 1
	v_cmp_o_f32_e32 vcc, v2, v2
	v_add3_u32 v2, v2, v7, s0
	v_cndmask_b32_sdwa v2, v3, v2, vcc dst_sel:DWORD dst_unused:UNUSED_PAD src0_sel:DWORD src1_sel:WORD_1
	global_store_dword v[15:16], v2, off
	s_mov_b64 s[0:1], 0
.LBB9_1694:
	s_and_b64 vcc, exec, s[10:11]
	s_cbranch_vccz .LBB9_1699
; %bb.1695:
	s_cmp_eq_u32 s15, 44
	s_mov_b64 s[0:1], -1
	s_cbranch_scc0 .LBB9_1699
; %bb.1696:
	v_cvt_f32_f64_e32 v2, v[0:1]
	s_movk_i32 s0, 0xff
	v_mov_b32_e32 v7, 0xff
	v_bfe_u32 v3, v2, 23, 8
	v_cmp_ne_u32_e32 vcc, s0, v3
	s_and_saveexec_b64 s[6:7], vcc
; %bb.1697:
	s_mov_b32 s0, 0x3fffff
	v_lshrrev_b32_e32 v7, 23, v2
	v_and_b32_e32 v11, 0x400000, v2
	v_and_or_b32 v2, v2, s0, v3
	v_cmp_ne_u32_e32 vcc, 0, v11
	v_cmp_ne_u32_e64 s[0:1], 0, v2
	s_and_b64 s[0:1], vcc, s[0:1]
	v_cndmask_b32_e64 v2, 0, 1, s[0:1]
	v_add_u32_e32 v7, v7, v2
; %bb.1698:
	s_or_b64 exec, exec, s[6:7]
	s_mov_b64 s[0:1], 0
	s_mov_b64 s[6:7], -1
	global_store_byte v[15:16], v7, off
.LBB9_1699:
	s_mov_b64 s[10:11], 0
.LBB9_1700:
	s_and_b64 vcc, exec, s[10:11]
	s_cbranch_vccz .LBB9_1703
; %bb.1701:
	s_cmp_eq_u32 s15, 29
	s_mov_b64 s[0:1], -1
	s_cbranch_scc0 .LBB9_1703
; %bb.1702:
	v_trunc_f64_e32 v[2:3], v[0:1]
	s_movk_i32 s0, 0xffe0
	s_mov_b64 s[6:7], -1
	v_ldexp_f64 v[17:18], v[2:3], s0
	s_mov_b32 s0, 0
	s_mov_b32 s1, 0xc1f00000
	v_floor_f64_e32 v[17:18], v[17:18]
	v_fma_f64 v[2:3], v[17:18], s[0:1], v[2:3]
	v_cvt_u32_f64_e32 v18, v[17:18]
	s_mov_b64 s[0:1], 0
	v_cvt_u32_f64_e32 v17, v[2:3]
	global_store_dwordx2 v[15:16], v[17:18], off
.LBB9_1703:
	s_mov_b64 s[10:11], 0
.LBB9_1704:
	s_and_b64 vcc, exec, s[10:11]
	s_cbranch_vccz .LBB9_1720
; %bb.1705:
	s_cmp_lt_i32 s15, 27
	s_mov_b64 s[6:7], -1
	s_cbranch_scc1 .LBB9_1711
; %bb.1706:
	v_cvt_u32_f64_e32 v2, v[0:1]
	s_cmp_gt_i32 s15, 27
	s_cbranch_scc0 .LBB9_1708
; %bb.1707:
	s_mov_b64 s[6:7], 0
	global_store_dword v[15:16], v2, off
.LBB9_1708:
	s_andn2_b64 vcc, exec, s[6:7]
	s_cbranch_vccnz .LBB9_1710
; %bb.1709:
	global_store_short v[15:16], v2, off
.LBB9_1710:
	s_mov_b64 s[6:7], 0
.LBB9_1711:
	s_andn2_b64 vcc, exec, s[6:7]
	s_cbranch_vccnz .LBB9_1719
; %bb.1712:
	v_cvt_f32_f64_e32 v2, v[0:1]
	s_mov_b32 s6, 0x43800000
	v_mov_b32_e32 v7, 0x80
	v_and_b32_e32 v3, 0x7fffffff, v2
	v_cmp_gt_u32_e32 vcc, s6, v3
	s_and_saveexec_b64 s[6:7], vcc
	s_cbranch_execz .LBB9_1718
; %bb.1713:
	s_mov_b32 s10, 0x3bffffff
	v_cmp_lt_u32_e32 vcc, s10, v3
	s_mov_b64 s[10:11], 0
                                        ; implicit-def: $vgpr3
	s_and_saveexec_b64 s[12:13], vcc
	s_xor_b64 s[12:13], exec, s[12:13]
	s_cbranch_execz .LBB9_2169
; %bb.1714:
	v_bfe_u32 v3, v2, 20, 1
	s_mov_b32 s17, 0x487ffff
	v_add3_u32 v3, v2, v3, s17
	s_mov_b64 s[10:11], exec
	v_lshrrev_b32_e32 v3, 20, v3
	s_andn2_saveexec_b64 s[12:13], s[12:13]
	s_cbranch_execnz .LBB9_2170
.LBB9_1715:
	s_or_b64 exec, exec, s[12:13]
	v_mov_b32_e32 v7, 0
	s_and_saveexec_b64 s[12:13], s[10:11]
.LBB9_1716:
	v_lshrrev_b32_e32 v2, 24, v2
	s_movk_i32 s10, 0x80
	v_and_or_b32 v7, v2, s10, v3
.LBB9_1717:
	s_or_b64 exec, exec, s[12:13]
.LBB9_1718:
	s_or_b64 exec, exec, s[6:7]
	global_store_byte v[15:16], v7, off
.LBB9_1719:
	s_mov_b64 s[6:7], -1
.LBB9_1720:
	s_mov_b64 s[10:11], 0
.LBB9_1721:
	s_and_b64 vcc, exec, s[10:11]
	s_cbranch_vccz .LBB9_1761
; %bb.1722:
	s_cmp_gt_i32 s15, 22
	s_mov_b64 s[4:5], -1
	s_cbranch_scc0 .LBB9_1754
; %bb.1723:
	s_cmp_lt_i32 s15, 24
	s_cbranch_scc1 .LBB9_1743
; %bb.1724:
	s_cmp_gt_i32 s15, 24
	s_cbranch_scc0 .LBB9_1732
; %bb.1725:
	v_cvt_f32_f64_e32 v2, v[0:1]
	s_mov_b32 s4, 0x47800000
	v_mov_b32_e32 v7, 0x80
	v_and_b32_e32 v3, 0x7fffffff, v2
	v_cmp_gt_u32_e32 vcc, s4, v3
	s_and_saveexec_b64 s[4:5], vcc
	s_cbranch_execz .LBB9_1731
; %bb.1726:
	s_mov_b32 s6, 0x37ffffff
	v_cmp_lt_u32_e32 vcc, s6, v3
	s_mov_b64 s[6:7], 0
                                        ; implicit-def: $vgpr3
	s_and_saveexec_b64 s[10:11], vcc
	s_xor_b64 s[10:11], exec, s[10:11]
	s_cbranch_execz .LBB9_2172
; %bb.1727:
	v_bfe_u32 v3, v2, 21, 1
	s_mov_b32 s12, 0x88fffff
	v_add3_u32 v3, v2, v3, s12
	s_mov_b64 s[6:7], exec
	v_lshrrev_b32_e32 v3, 21, v3
	s_andn2_saveexec_b64 s[10:11], s[10:11]
	s_cbranch_execnz .LBB9_2173
.LBB9_1728:
	s_or_b64 exec, exec, s[10:11]
	v_mov_b32_e32 v7, 0
	s_and_saveexec_b64 s[10:11], s[6:7]
.LBB9_1729:
	v_lshrrev_b32_e32 v2, 24, v2
	s_movk_i32 s6, 0x80
	v_and_or_b32 v7, v2, s6, v3
.LBB9_1730:
	s_or_b64 exec, exec, s[10:11]
.LBB9_1731:
	s_or_b64 exec, exec, s[4:5]
	s_mov_b64 s[4:5], 0
	global_store_byte v[15:16], v7, off
.LBB9_1732:
	s_and_b64 vcc, exec, s[4:5]
	s_cbranch_vccz .LBB9_1742
; %bb.1733:
	v_cvt_f32_f64_e32 v2, v[0:1]
	s_mov_b32 s4, 0x43f00000
                                        ; implicit-def: $vgpr3
	v_and_b32_e32 v7, 0x7fffffff, v2
	v_cmp_gt_u32_e32 vcc, s4, v7
	s_and_saveexec_b64 s[4:5], vcc
	s_xor_b64 s[4:5], exec, s[4:5]
	s_cbranch_execz .LBB9_1739
; %bb.1734:
	s_mov_b32 s6, 0x3c7fffff
	v_cmp_lt_u32_e32 vcc, s6, v7
                                        ; implicit-def: $vgpr3
	s_and_saveexec_b64 s[6:7], vcc
	s_xor_b64 s[6:7], exec, s[6:7]
; %bb.1735:
	v_bfe_u32 v3, v2, 20, 1
	s_mov_b32 s10, 0x407ffff
	v_add3_u32 v3, v2, v3, s10
	v_lshrrev_b32_e32 v7, 20, v3
	v_and_b32_e32 v3, 0xff00000, v3
	s_mov_b32 s10, 0x7f00000
	v_mov_b32_e32 v11, 0x7e
	v_cmp_ne_u32_e32 vcc, s10, v3
	v_cndmask_b32_e32 v3, v11, v7, vcc
; %bb.1736:
	s_andn2_saveexec_b64 s[6:7], s[6:7]
; %bb.1737:
	s_mov_b32 s10, 0x46800000
	v_add_f32_e64 v3, |v2|, s10
; %bb.1738:
	s_or_b64 exec, exec, s[6:7]
                                        ; implicit-def: $vgpr7
.LBB9_1739:
	s_andn2_saveexec_b64 s[4:5], s[4:5]
; %bb.1740:
	s_mov_b32 s6, 0x7f800000
	v_mov_b32_e32 v3, 0x7e
	v_mov_b32_e32 v11, 0x7f
	v_cmp_lt_u32_e32 vcc, s6, v7
	v_cndmask_b32_e32 v3, v3, v11, vcc
; %bb.1741:
	s_or_b64 exec, exec, s[4:5]
	v_lshrrev_b32_e32 v2, 24, v2
	s_movk_i32 s4, 0x80
	v_and_or_b32 v2, v2, s4, v3
	global_store_byte v[15:16], v2, off
.LBB9_1742:
	s_mov_b64 s[4:5], 0
.LBB9_1743:
	s_andn2_b64 vcc, exec, s[4:5]
	s_cbranch_vccnz .LBB9_1753
; %bb.1744:
	v_cvt_f32_f64_e32 v2, v[0:1]
	s_mov_b32 s4, 0x47800000
                                        ; implicit-def: $vgpr3
	v_and_b32_e32 v7, 0x7fffffff, v2
	v_cmp_gt_u32_e32 vcc, s4, v7
	s_and_saveexec_b64 s[4:5], vcc
	s_xor_b64 s[4:5], exec, s[4:5]
	s_cbranch_execz .LBB9_1750
; %bb.1745:
	s_mov_b32 s6, 0x387fffff
	v_cmp_lt_u32_e32 vcc, s6, v7
                                        ; implicit-def: $vgpr3
	s_and_saveexec_b64 s[6:7], vcc
	s_xor_b64 s[6:7], exec, s[6:7]
; %bb.1746:
	v_bfe_u32 v3, v2, 21, 1
	s_mov_b32 s10, 0x80fffff
	v_add3_u32 v3, v2, v3, s10
	v_lshrrev_b32_e32 v3, 21, v3
; %bb.1747:
	s_andn2_saveexec_b64 s[6:7], s[6:7]
; %bb.1748:
	s_mov_b32 s10, 0x43000000
	v_add_f32_e64 v3, |v2|, s10
; %bb.1749:
	s_or_b64 exec, exec, s[6:7]
                                        ; implicit-def: $vgpr7
.LBB9_1750:
	s_andn2_saveexec_b64 s[4:5], s[4:5]
; %bb.1751:
	s_mov_b32 s6, 0x7f800000
	v_mov_b32_e32 v3, 0x7c
	v_mov_b32_e32 v11, 0x7f
	v_cmp_lt_u32_e32 vcc, s6, v7
	v_cndmask_b32_e32 v3, v3, v11, vcc
; %bb.1752:
	s_or_b64 exec, exec, s[4:5]
	v_lshrrev_b32_e32 v2, 24, v2
	s_movk_i32 s4, 0x80
	v_and_or_b32 v2, v2, s4, v3
	global_store_byte v[15:16], v2, off
.LBB9_1753:
	s_mov_b64 s[4:5], 0
	s_mov_b64 s[6:7], -1
.LBB9_1754:
	s_andn2_b64 vcc, exec, s[4:5]
	s_mov_b64 s[4:5], 0
	s_cbranch_vccnz .LBB9_1761
; %bb.1755:
	s_cmp_gt_i32 s15, 14
	s_mov_b64 s[10:11], -1
	s_cbranch_scc0 .LBB9_1759
; %bb.1756:
	s_cmp_eq_u32 s15, 15
	s_mov_b64 s[0:1], -1
	s_cbranch_scc0 .LBB9_1758
; %bb.1757:
	v_cvt_f32_f64_e32 v2, v[0:1]
	s_movk_i32 s0, 0x7fff
	v_mov_b32_e32 v3, 0x7fc0
	s_mov_b64 s[6:7], -1
	v_bfe_u32 v7, v2, 16, 1
	v_cmp_o_f32_e32 vcc, v2, v2
	v_add3_u32 v2, v2, v7, s0
	v_cndmask_b32_sdwa v2, v3, v2, vcc dst_sel:DWORD dst_unused:UNUSED_PAD src0_sel:DWORD src1_sel:WORD_1
	global_store_short v[15:16], v2, off
	s_mov_b64 s[0:1], 0
.LBB9_1758:
	s_mov_b64 s[10:11], 0
.LBB9_1759:
	s_and_b64 vcc, exec, s[10:11]
	s_cbranch_vccz .LBB9_1761
; %bb.1760:
	s_cmp_lg_u32 s15, 11
	s_mov_b64 s[4:5], -1
	s_cselect_b64 s[0:1], -1, 0
.LBB9_1761:
	s_and_b64 vcc, exec, s[0:1]
	s_cbranch_vccnz .LBB9_2171
; %bb.1762:
	s_andn2_b64 vcc, exec, s[4:5]
	s_cbranch_vccnz .LBB9_1764
.LBB9_1763:
	v_cmp_neq_f64_e32 vcc, 0, v[0:1]
	s_mov_b64 s[6:7], -1
	v_cndmask_b32_e64 v2, 0, 1, vcc
	global_store_byte v[15:16], v2, off
.LBB9_1764:
	s_mov_b64 s[0:1], 0
	s_branch .LBB9_1812
.LBB9_1765:
	s_mov_b64 s[0:1], 0
                                        ; implicit-def: $vgpr0_vgpr1
                                        ; implicit-def: $sgpr14
                                        ; implicit-def: $vgpr12_vgpr13
.LBB9_1766:
	s_mov_b64 s[4:5], 0
.LBB9_1767:
	s_and_b64 s[6:7], s[4:5], exec
	s_andn2_b64 s[4:5], s[28:29], exec
	s_and_b64 s[2:3], s[2:3], exec
	s_and_b64 s[0:1], s[0:1], exec
	s_or_b64 s[28:29], s[4:5], s[2:3]
.LBB9_1768:
	s_or_b64 exec, exec, s[30:31]
	s_and_saveexec_b64 s[2:3], s[28:29]
	s_cbranch_execz .LBB9_1771
; %bb.1769:
	; divergent unreachable
	s_or_b64 exec, exec, s[2:3]
	s_and_saveexec_b64 s[2:3], s[6:7]
	s_xor_b64 s[2:3], exec, s[2:3]
	s_cbranch_execnz .LBB9_1772
.LBB9_1770:
	s_or_b64 exec, exec, s[2:3]
	s_and_saveexec_b64 s[2:3], s[0:1]
	s_cbranch_execnz .LBB9_1773
	s_branch .LBB9_1810
.LBB9_1771:
	s_or_b64 exec, exec, s[2:3]
	s_and_saveexec_b64 s[2:3], s[6:7]
	s_xor_b64 s[2:3], exec, s[2:3]
	s_cbranch_execz .LBB9_1770
.LBB9_1772:
	s_waitcnt vmcnt(0)
	v_cmp_neq_f64_e32 vcc, 0, v[12:13]
	v_cndmask_b32_e64 v2, 0, 1, vcc
	global_store_byte v[0:1], v2, off
	s_or_b64 exec, exec, s[2:3]
	s_and_saveexec_b64 s[2:3], s[0:1]
	s_cbranch_execz .LBB9_1810
.LBB9_1773:
	s_sext_i32_i16 s2, s14
	s_cmp_lt_i32 s2, 5
	s_mov_b64 s[0:1], -1
	s_cbranch_scc1 .LBB9_1794
; %bb.1774:
	s_cmp_lt_i32 s2, 8
	s_cbranch_scc1 .LBB9_1784
; %bb.1775:
	s_cmp_lt_i32 s2, 9
	s_cbranch_scc1 .LBB9_1781
; %bb.1776:
	s_cmp_gt_i32 s2, 9
	s_cbranch_scc0 .LBB9_1778
; %bb.1777:
	v_mov_b32_e32 v14, 0
	s_waitcnt vmcnt(0)
	v_mov_b32_e32 v15, v14
	global_store_dwordx4 v[0:1], v[12:15], off
	s_mov_b64 s[0:1], 0
.LBB9_1778:
	s_andn2_b64 vcc, exec, s[0:1]
	s_cbranch_vccnz .LBB9_1780
; %bb.1779:
	s_waitcnt vmcnt(0)
	v_cvt_f32_f64_e32 v2, v[12:13]
	v_mov_b32_e32 v3, 0
	global_store_dwordx2 v[0:1], v[2:3], off
.LBB9_1780:
	s_mov_b64 s[0:1], 0
.LBB9_1781:
	s_andn2_b64 vcc, exec, s[0:1]
	s_cbranch_vccnz .LBB9_1783
; %bb.1782:
	s_movk_i32 s0, 0x1ff
	s_waitcnt vmcnt(0)
	v_and_or_b32 v2, v13, s0, v12
	v_cmp_ne_u32_e32 vcc, 0, v2
	v_cndmask_b32_e64 v2, 0, 1, vcc
	v_lshrrev_b32_e32 v3, 8, v13
	s_movk_i32 s0, 0xffe
	v_bfe_u32 v4, v13, 20, 11
	v_and_or_b32 v2, v3, s0, v2
	v_sub_u32_e32 v5, 0x3f1, v4
	v_or_b32_e32 v3, 0x1000, v2
	v_med3_i32 v5, v5, 0, 13
	v_lshrrev_b32_e32 v6, v5, v3
	v_lshlrev_b32_e32 v5, v5, v6
	v_cmp_ne_u32_e32 vcc, v5, v3
	v_cndmask_b32_e64 v3, 0, 1, vcc
	v_add_u32_e32 v4, 0xfffffc10, v4
	v_or_b32_e32 v3, v6, v3
	v_lshl_or_b32 v5, v4, 12, v2
	v_cmp_gt_i32_e32 vcc, 1, v4
	v_cndmask_b32_e32 v3, v5, v3, vcc
	v_and_b32_e32 v5, 7, v3
	v_cmp_lt_i32_e32 vcc, 5, v5
	v_cndmask_b32_e64 v6, 0, 1, vcc
	v_cmp_eq_u32_e32 vcc, 3, v5
	v_cndmask_b32_e64 v5, 0, 1, vcc
	v_or_b32_e32 v5, v5, v6
	v_lshrrev_b32_e32 v3, 2, v3
	v_add_u32_e32 v3, v3, v5
	v_mov_b32_e32 v5, 0x7c00
	v_cmp_gt_i32_e32 vcc, 31, v4
	v_cndmask_b32_e32 v3, v5, v3, vcc
	v_mov_b32_e32 v6, 0x7e00
	v_cmp_ne_u32_e32 vcc, 0, v2
	s_movk_i32 s0, 0x40f
	v_cndmask_b32_e32 v2, v5, v6, vcc
	v_cmp_eq_u32_e32 vcc, s0, v4
	v_cndmask_b32_e32 v2, v3, v2, vcc
	v_lshrrev_b32_e32 v3, 16, v13
	s_mov_b32 s0, 0x8000
	v_and_or_b32 v2, v3, s0, v2
	v_and_b32_e32 v2, 0xffff, v2
	global_store_dword v[0:1], v2, off
.LBB9_1783:
	s_mov_b64 s[0:1], 0
.LBB9_1784:
	s_andn2_b64 vcc, exec, s[0:1]
	s_cbranch_vccnz .LBB9_1793
; %bb.1785:
	s_sext_i32_i16 s2, s14
	s_cmp_lt_i32 s2, 6
	s_mov_b64 s[0:1], -1
	s_cbranch_scc1 .LBB9_1791
; %bb.1786:
	s_cmp_gt_i32 s2, 6
	s_cbranch_scc0 .LBB9_1788
; %bb.1787:
	s_waitcnt vmcnt(0)
	global_store_dwordx2 v[0:1], v[12:13], off
	s_mov_b64 s[0:1], 0
.LBB9_1788:
	s_andn2_b64 vcc, exec, s[0:1]
	s_cbranch_vccnz .LBB9_1790
; %bb.1789:
	s_waitcnt vmcnt(0)
	v_cvt_f32_f64_e32 v2, v[12:13]
	global_store_dword v[0:1], v2, off
.LBB9_1790:
	s_mov_b64 s[0:1], 0
.LBB9_1791:
	s_andn2_b64 vcc, exec, s[0:1]
	s_cbranch_vccnz .LBB9_1793
; %bb.1792:
	s_movk_i32 s0, 0x1ff
	s_waitcnt vmcnt(0)
	v_and_or_b32 v2, v13, s0, v12
	v_cmp_ne_u32_e32 vcc, 0, v2
	v_cndmask_b32_e64 v2, 0, 1, vcc
	v_lshrrev_b32_e32 v3, 8, v13
	s_movk_i32 s0, 0xffe
	v_bfe_u32 v4, v13, 20, 11
	v_and_or_b32 v2, v3, s0, v2
	v_sub_u32_e32 v5, 0x3f1, v4
	v_or_b32_e32 v3, 0x1000, v2
	v_med3_i32 v5, v5, 0, 13
	v_lshrrev_b32_e32 v6, v5, v3
	v_lshlrev_b32_e32 v5, v5, v6
	v_cmp_ne_u32_e32 vcc, v5, v3
	v_cndmask_b32_e64 v3, 0, 1, vcc
	v_add_u32_e32 v4, 0xfffffc10, v4
	v_or_b32_e32 v3, v6, v3
	v_lshl_or_b32 v5, v4, 12, v2
	v_cmp_gt_i32_e32 vcc, 1, v4
	v_cndmask_b32_e32 v3, v5, v3, vcc
	v_and_b32_e32 v5, 7, v3
	v_cmp_lt_i32_e32 vcc, 5, v5
	v_cndmask_b32_e64 v6, 0, 1, vcc
	v_cmp_eq_u32_e32 vcc, 3, v5
	v_cndmask_b32_e64 v5, 0, 1, vcc
	v_or_b32_e32 v5, v5, v6
	v_lshrrev_b32_e32 v3, 2, v3
	v_add_u32_e32 v3, v3, v5
	v_mov_b32_e32 v5, 0x7c00
	v_cmp_gt_i32_e32 vcc, 31, v4
	v_cndmask_b32_e32 v3, v5, v3, vcc
	v_mov_b32_e32 v6, 0x7e00
	v_cmp_ne_u32_e32 vcc, 0, v2
	s_movk_i32 s0, 0x40f
	v_cndmask_b32_e32 v2, v5, v6, vcc
	v_cmp_eq_u32_e32 vcc, s0, v4
	v_cndmask_b32_e32 v2, v3, v2, vcc
	v_lshrrev_b32_e32 v3, 16, v13
	s_mov_b32 s0, 0x8000
	v_and_or_b32 v2, v3, s0, v2
	global_store_short v[0:1], v2, off
.LBB9_1793:
	s_mov_b64 s[0:1], 0
.LBB9_1794:
	s_andn2_b64 vcc, exec, s[0:1]
	s_cbranch_vccnz .LBB9_1810
; %bb.1795:
	s_sext_i32_i16 s2, s14
	s_cmp_lt_i32 s2, 2
	s_mov_b64 s[0:1], -1
	s_cbranch_scc1 .LBB9_1805
; %bb.1796:
	s_cmp_lt_i32 s2, 3
	s_cbranch_scc1 .LBB9_1802
; %bb.1797:
	s_cmp_gt_i32 s2, 3
	s_cbranch_scc0 .LBB9_1799
; %bb.1798:
	s_waitcnt vmcnt(0)
	v_trunc_f64_e32 v[2:3], v[12:13]
	s_movk_i32 s0, 0xffe0
	v_ldexp_f64 v[4:5], v[2:3], s0
	s_mov_b32 s0, 0
	s_mov_b32 s1, 0xc1f00000
	v_floor_f64_e32 v[4:5], v[4:5]
	v_fma_f64 v[2:3], v[4:5], s[0:1], v[2:3]
	v_cvt_i32_f64_e32 v4, v[4:5]
	s_mov_b64 s[0:1], 0
	v_cvt_u32_f64_e32 v3, v[2:3]
	global_store_dwordx2 v[0:1], v[3:4], off
.LBB9_1799:
	s_andn2_b64 vcc, exec, s[0:1]
	s_cbranch_vccnz .LBB9_1801
; %bb.1800:
	s_waitcnt vmcnt(0)
	v_cvt_i32_f64_e32 v2, v[12:13]
	global_store_dword v[0:1], v2, off
.LBB9_1801:
	s_mov_b64 s[0:1], 0
.LBB9_1802:
	s_andn2_b64 vcc, exec, s[0:1]
	s_cbranch_vccnz .LBB9_1804
; %bb.1803:
	s_waitcnt vmcnt(0)
	v_cvt_i32_f64_e32 v2, v[12:13]
	global_store_short v[0:1], v2, off
.LBB9_1804:
	s_mov_b64 s[0:1], 0
.LBB9_1805:
	s_andn2_b64 vcc, exec, s[0:1]
	s_cbranch_vccnz .LBB9_1810
; %bb.1806:
	s_sext_i32_i16 s0, s14
	s_cmp_gt_i32 s0, 0
	s_mov_b64 s[0:1], -1
	s_cbranch_scc0 .LBB9_1808
; %bb.1807:
	s_waitcnt vmcnt(0)
	v_cvt_i32_f64_e32 v2, v[12:13]
	s_mov_b64 s[0:1], 0
	global_store_byte v[0:1], v2, off
.LBB9_1808:
	s_andn2_b64 vcc, exec, s[0:1]
	s_cbranch_vccnz .LBB9_1810
; %bb.1809:
	s_waitcnt vmcnt(0)
	v_trunc_f64_e32 v[2:3], v[12:13]
	s_movk_i32 s0, 0xffe0
	v_ldexp_f64 v[4:5], v[2:3], s0
	s_mov_b32 s0, 0
	s_mov_b32 s1, 0xc1f00000
	v_floor_f64_e32 v[4:5], v[4:5]
	v_fma_f64 v[2:3], v[4:5], s[0:1], v[2:3]
	v_cvt_u32_f64_e32 v2, v[2:3]
	global_store_byte v[0:1], v2, off
	s_endpgm
.LBB9_1810:
	s_endpgm
.LBB9_1811:
	s_mov_b64 s[0:1], -1
	s_mov_b64 s[6:7], 0
.LBB9_1812:
	s_and_b64 vcc, exec, s[0:1]
	s_cbranch_vccz .LBB9_1851
; %bb.1813:
	s_and_b32 s4, 0xffff, s14
	s_cmp_lt_i32 s4, 5
	s_mov_b64 s[0:1], -1
	s_cbranch_scc1 .LBB9_1834
; %bb.1814:
	s_cmp_lt_i32 s4, 8
	s_cbranch_scc1 .LBB9_1824
; %bb.1815:
	s_cmp_lt_i32 s4, 9
	s_cbranch_scc1 .LBB9_1821
; %bb.1816:
	s_cmp_gt_i32 s4, 9
	s_cbranch_scc0 .LBB9_1818
; %bb.1817:
	v_mov_b32_e32 v2, 0
	v_mov_b32_e32 v3, v2
	global_store_dwordx4 v[15:16], v[0:3], off
	s_mov_b64 s[0:1], 0
.LBB9_1818:
	s_andn2_b64 vcc, exec, s[0:1]
	s_cbranch_vccnz .LBB9_1820
; %bb.1819:
	v_cvt_f32_f64_e32 v2, v[0:1]
	v_mov_b32_e32 v3, 0
	global_store_dwordx2 v[15:16], v[2:3], off
.LBB9_1820:
	s_mov_b64 s[0:1], 0
.LBB9_1821:
	s_andn2_b64 vcc, exec, s[0:1]
	s_cbranch_vccnz .LBB9_1823
; %bb.1822:
	s_movk_i32 s0, 0x1ff
	v_and_or_b32 v2, v1, s0, v0
	v_cmp_ne_u32_e32 vcc, 0, v2
	v_cndmask_b32_e64 v2, 0, 1, vcc
	v_lshrrev_b32_e32 v3, 8, v1
	s_movk_i32 s0, 0xffe
	v_bfe_u32 v7, v1, 20, 11
	v_and_or_b32 v2, v3, s0, v2
	v_sub_u32_e32 v11, 0x3f1, v7
	v_or_b32_e32 v3, 0x1000, v2
	v_med3_i32 v11, v11, 0, 13
	v_lshrrev_b32_e32 v17, v11, v3
	v_lshlrev_b32_e32 v11, v11, v17
	v_cmp_ne_u32_e32 vcc, v11, v3
	v_cndmask_b32_e64 v3, 0, 1, vcc
	v_add_u32_e32 v7, 0xfffffc10, v7
	v_or_b32_e32 v3, v17, v3
	v_lshl_or_b32 v11, v7, 12, v2
	v_cmp_gt_i32_e32 vcc, 1, v7
	v_cndmask_b32_e32 v3, v11, v3, vcc
	v_and_b32_e32 v11, 7, v3
	v_cmp_lt_i32_e32 vcc, 5, v11
	v_cndmask_b32_e64 v17, 0, 1, vcc
	v_cmp_eq_u32_e32 vcc, 3, v11
	v_cndmask_b32_e64 v11, 0, 1, vcc
	v_or_b32_e32 v11, v11, v17
	v_lshrrev_b32_e32 v3, 2, v3
	v_add_u32_e32 v3, v3, v11
	v_mov_b32_e32 v11, 0x7c00
	v_cmp_gt_i32_e32 vcc, 31, v7
	v_cndmask_b32_e32 v3, v11, v3, vcc
	v_mov_b32_e32 v17, 0x7e00
	v_cmp_ne_u32_e32 vcc, 0, v2
	s_movk_i32 s0, 0x40f
	v_cndmask_b32_e32 v2, v11, v17, vcc
	v_cmp_eq_u32_e32 vcc, s0, v7
	v_cndmask_b32_e32 v2, v3, v2, vcc
	v_lshrrev_b32_e32 v3, 16, v1
	s_mov_b32 s0, 0x8000
	v_and_or_b32 v2, v3, s0, v2
	v_and_b32_e32 v2, 0xffff, v2
	global_store_dword v[15:16], v2, off
.LBB9_1823:
	s_mov_b64 s[0:1], 0
.LBB9_1824:
	s_andn2_b64 vcc, exec, s[0:1]
	s_cbranch_vccnz .LBB9_1833
; %bb.1825:
	s_cmp_lt_i32 s4, 6
	s_mov_b64 s[0:1], -1
	s_cbranch_scc1 .LBB9_1831
; %bb.1826:
	s_cmp_gt_i32 s4, 6
	s_cbranch_scc0 .LBB9_1828
; %bb.1827:
	global_store_dwordx2 v[15:16], v[0:1], off
	s_mov_b64 s[0:1], 0
.LBB9_1828:
	s_andn2_b64 vcc, exec, s[0:1]
	s_cbranch_vccnz .LBB9_1830
; %bb.1829:
	v_cvt_f32_f64_e32 v2, v[0:1]
	global_store_dword v[15:16], v2, off
.LBB9_1830:
	s_mov_b64 s[0:1], 0
.LBB9_1831:
	s_andn2_b64 vcc, exec, s[0:1]
	s_cbranch_vccnz .LBB9_1833
; %bb.1832:
	s_movk_i32 s0, 0x1ff
	v_and_or_b32 v2, v1, s0, v0
	v_cmp_ne_u32_e32 vcc, 0, v2
	v_cndmask_b32_e64 v2, 0, 1, vcc
	v_lshrrev_b32_e32 v3, 8, v1
	s_movk_i32 s0, 0xffe
	v_bfe_u32 v7, v1, 20, 11
	v_and_or_b32 v2, v3, s0, v2
	v_sub_u32_e32 v11, 0x3f1, v7
	v_or_b32_e32 v3, 0x1000, v2
	v_med3_i32 v11, v11, 0, 13
	v_lshrrev_b32_e32 v17, v11, v3
	v_lshlrev_b32_e32 v11, v11, v17
	v_cmp_ne_u32_e32 vcc, v11, v3
	v_cndmask_b32_e64 v3, 0, 1, vcc
	v_add_u32_e32 v7, 0xfffffc10, v7
	v_or_b32_e32 v3, v17, v3
	v_lshl_or_b32 v11, v7, 12, v2
	v_cmp_gt_i32_e32 vcc, 1, v7
	v_cndmask_b32_e32 v3, v11, v3, vcc
	v_and_b32_e32 v11, 7, v3
	v_cmp_lt_i32_e32 vcc, 5, v11
	v_cndmask_b32_e64 v17, 0, 1, vcc
	v_cmp_eq_u32_e32 vcc, 3, v11
	v_cndmask_b32_e64 v11, 0, 1, vcc
	v_or_b32_e32 v11, v11, v17
	v_lshrrev_b32_e32 v3, 2, v3
	v_add_u32_e32 v3, v3, v11
	v_mov_b32_e32 v11, 0x7c00
	v_cmp_gt_i32_e32 vcc, 31, v7
	v_cndmask_b32_e32 v3, v11, v3, vcc
	v_mov_b32_e32 v17, 0x7e00
	v_cmp_ne_u32_e32 vcc, 0, v2
	s_movk_i32 s0, 0x40f
	v_cndmask_b32_e32 v2, v11, v17, vcc
	v_cmp_eq_u32_e32 vcc, s0, v7
	v_cndmask_b32_e32 v2, v3, v2, vcc
	v_lshrrev_b32_e32 v3, 16, v1
	s_mov_b32 s0, 0x8000
	v_and_or_b32 v2, v3, s0, v2
	global_store_short v[15:16], v2, off
.LBB9_1833:
	s_mov_b64 s[0:1], 0
.LBB9_1834:
	s_andn2_b64 vcc, exec, s[0:1]
	s_cbranch_vccnz .LBB9_1850
; %bb.1835:
	s_cmp_lt_i32 s4, 2
	s_mov_b64 s[0:1], -1
	s_cbranch_scc1 .LBB9_1845
; %bb.1836:
	s_cmp_lt_i32 s4, 3
	s_cbranch_scc1 .LBB9_1842
; %bb.1837:
	s_cmp_gt_i32 s4, 3
	s_cbranch_scc0 .LBB9_1839
; %bb.1838:
	v_trunc_f64_e32 v[2:3], v[0:1]
	s_movk_i32 s0, 0xffe0
	v_ldexp_f64 v[17:18], v[2:3], s0
	s_mov_b32 s0, 0
	s_mov_b32 s1, 0xc1f00000
	v_floor_f64_e32 v[17:18], v[17:18]
	v_fma_f64 v[2:3], v[17:18], s[0:1], v[2:3]
	v_cvt_i32_f64_e32 v18, v[17:18]
	s_mov_b64 s[0:1], 0
	v_cvt_u32_f64_e32 v17, v[2:3]
	global_store_dwordx2 v[15:16], v[17:18], off
.LBB9_1839:
	s_andn2_b64 vcc, exec, s[0:1]
	s_cbranch_vccnz .LBB9_1841
; %bb.1840:
	v_cvt_i32_f64_e32 v2, v[0:1]
	global_store_dword v[15:16], v2, off
.LBB9_1841:
	s_mov_b64 s[0:1], 0
.LBB9_1842:
	s_andn2_b64 vcc, exec, s[0:1]
	s_cbranch_vccnz .LBB9_1844
; %bb.1843:
	v_cvt_i32_f64_e32 v2, v[0:1]
	global_store_short v[15:16], v2, off
.LBB9_1844:
	s_mov_b64 s[0:1], 0
.LBB9_1845:
	s_andn2_b64 vcc, exec, s[0:1]
	s_cbranch_vccnz .LBB9_1850
; %bb.1846:
	s_cmp_gt_i32 s4, 0
	s_mov_b64 s[0:1], -1
	s_cbranch_scc0 .LBB9_1848
; %bb.1847:
	v_cvt_i32_f64_e32 v2, v[0:1]
	s_mov_b64 s[0:1], 0
	global_store_byte v[15:16], v2, off
.LBB9_1848:
	s_andn2_b64 vcc, exec, s[0:1]
	s_cbranch_vccnz .LBB9_1850
; %bb.1849:
	v_trunc_f64_e32 v[0:1], v[0:1]
	s_movk_i32 s0, 0xffe0
	v_ldexp_f64 v[2:3], v[0:1], s0
	s_mov_b32 s0, 0
	s_mov_b32 s1, 0xc1f00000
	v_floor_f64_e32 v[2:3], v[2:3]
	v_fma_f64 v[0:1], v[2:3], s[0:1], v[0:1]
	v_cvt_u32_f64_e32 v0, v[0:1]
	global_store_byte v[15:16], v0, off
.LBB9_1850:
	s_mov_b64 s[6:7], -1
.LBB9_1851:
	s_andn2_b64 vcc, exec, s[6:7]
	s_cbranch_vccnz .LBB9_2166
; %bb.1852:
	s_lshr_b32 s0, s16, 8
	s_and_b32 s14, s0, 0xff
	v_mov_b32_e32 v1, s9
	v_add_co_u32_e32 v0, vcc, s8, v6
	s_cmp_lt_i32 s14, 11
	v_addc_co_u32_e32 v1, vcc, 0, v1, vcc
	s_cbranch_scc1 .LBB9_1930
; %bb.1853:
	s_and_b32 s15, 0xffff, s14
	s_mov_b64 s[10:11], -1
	s_mov_b64 s[4:5], 0
	s_cmp_gt_i32 s15, 25
	s_mov_b64 s[6:7], 0
	s_mov_b64 s[0:1], 0
	s_cbranch_scc0 .LBB9_1886
; %bb.1854:
	s_cmp_gt_i32 s15, 28
	s_cbranch_scc0 .LBB9_1869
; %bb.1855:
	s_cmp_gt_i32 s15, 43
	;; [unrolled: 3-line block ×3, first 2 shown]
	s_cbranch_scc0 .LBB9_1859
; %bb.1857:
	s_mov_b64 s[0:1], -1
	s_mov_b64 s[10:11], 0
	s_cmp_eq_u32 s15, 46
	s_cbranch_scc0 .LBB9_1859
; %bb.1858:
	v_cvt_f32_f64_e32 v2, v[4:5]
	s_movk_i32 s0, 0x7fff
	v_mov_b32_e32 v3, 0x7fc0
	s_mov_b64 s[6:7], -1
	v_bfe_u32 v6, v2, 16, 1
	v_cmp_o_f32_e32 vcc, v2, v2
	v_add3_u32 v2, v2, v6, s0
	v_cndmask_b32_sdwa v2, v3, v2, vcc dst_sel:DWORD dst_unused:UNUSED_PAD src0_sel:DWORD src1_sel:WORD_1
	global_store_dword v[0:1], v2, off
	s_mov_b64 s[0:1], 0
.LBB9_1859:
	s_and_b64 vcc, exec, s[10:11]
	s_cbranch_vccz .LBB9_1864
; %bb.1860:
	s_cmp_eq_u32 s15, 44
	s_mov_b64 s[0:1], -1
	s_cbranch_scc0 .LBB9_1864
; %bb.1861:
	v_cvt_f32_f64_e32 v2, v[4:5]
	s_movk_i32 s0, 0xff
	v_mov_b32_e32 v6, 0xff
	v_bfe_u32 v3, v2, 23, 8
	v_cmp_ne_u32_e32 vcc, s0, v3
	s_and_saveexec_b64 s[6:7], vcc
; %bb.1862:
	s_mov_b32 s0, 0x3fffff
	v_lshrrev_b32_e32 v6, 23, v2
	v_and_b32_e32 v7, 0x400000, v2
	v_and_or_b32 v2, v2, s0, v3
	v_cmp_ne_u32_e32 vcc, 0, v7
	v_cmp_ne_u32_e64 s[0:1], 0, v2
	s_and_b64 s[0:1], vcc, s[0:1]
	v_cndmask_b32_e64 v2, 0, 1, s[0:1]
	v_add_u32_e32 v6, v6, v2
; %bb.1863:
	s_or_b64 exec, exec, s[6:7]
	s_mov_b64 s[0:1], 0
	s_mov_b64 s[6:7], -1
	global_store_byte v[0:1], v6, off
.LBB9_1864:
	s_mov_b64 s[10:11], 0
.LBB9_1865:
	s_and_b64 vcc, exec, s[10:11]
	s_cbranch_vccz .LBB9_1868
; %bb.1866:
	s_cmp_eq_u32 s15, 29
	s_mov_b64 s[0:1], -1
	s_cbranch_scc0 .LBB9_1868
; %bb.1867:
	v_trunc_f64_e32 v[2:3], v[4:5]
	s_movk_i32 s0, 0xffe0
	s_mov_b64 s[6:7], -1
	v_ldexp_f64 v[6:7], v[2:3], s0
	s_mov_b32 s0, 0
	s_mov_b32 s1, 0xc1f00000
	v_floor_f64_e32 v[6:7], v[6:7]
	v_fma_f64 v[2:3], v[6:7], s[0:1], v[2:3]
	v_cvt_u32_f64_e32 v7, v[6:7]
	s_mov_b64 s[0:1], 0
	v_cvt_u32_f64_e32 v6, v[2:3]
	global_store_dwordx2 v[0:1], v[6:7], off
.LBB9_1868:
	s_mov_b64 s[10:11], 0
.LBB9_1869:
	s_and_b64 vcc, exec, s[10:11]
	s_cbranch_vccz .LBB9_1885
; %bb.1870:
	s_cmp_lt_i32 s15, 27
	s_mov_b64 s[6:7], -1
	s_cbranch_scc1 .LBB9_1876
; %bb.1871:
	s_cmp_gt_i32 s15, 27
	s_cbranch_scc0 .LBB9_1873
; %bb.1872:
	v_cvt_u32_f64_e32 v2, v[4:5]
	s_mov_b64 s[6:7], 0
	global_store_dword v[0:1], v2, off
.LBB9_1873:
	s_andn2_b64 vcc, exec, s[6:7]
	s_cbranch_vccnz .LBB9_1875
; %bb.1874:
	v_cvt_u32_f64_e32 v2, v[4:5]
	global_store_short v[0:1], v2, off
.LBB9_1875:
	s_mov_b64 s[6:7], 0
.LBB9_1876:
	s_andn2_b64 vcc, exec, s[6:7]
	s_cbranch_vccnz .LBB9_1884
; %bb.1877:
	v_cvt_f32_f64_e32 v2, v[4:5]
	s_mov_b32 s6, 0x43800000
	v_mov_b32_e32 v6, 0x80
	v_and_b32_e32 v3, 0x7fffffff, v2
	v_cmp_gt_u32_e32 vcc, s6, v3
	s_and_saveexec_b64 s[6:7], vcc
	s_cbranch_execz .LBB9_1883
; %bb.1878:
	s_mov_b32 s10, 0x3bffffff
	v_cmp_lt_u32_e32 vcc, s10, v3
	s_mov_b64 s[10:11], 0
                                        ; implicit-def: $vgpr3
	s_and_saveexec_b64 s[12:13], vcc
	s_xor_b64 s[12:13], exec, s[12:13]
	s_cbranch_execz .LBB9_2174
; %bb.1879:
	v_bfe_u32 v3, v2, 20, 1
	s_mov_b32 s16, 0x487ffff
	v_add3_u32 v3, v2, v3, s16
	s_mov_b64 s[10:11], exec
	v_lshrrev_b32_e32 v3, 20, v3
	s_andn2_saveexec_b64 s[12:13], s[12:13]
	s_cbranch_execnz .LBB9_2175
.LBB9_1880:
	s_or_b64 exec, exec, s[12:13]
	v_mov_b32_e32 v6, 0
	s_and_saveexec_b64 s[12:13], s[10:11]
.LBB9_1881:
	v_lshrrev_b32_e32 v2, 24, v2
	s_movk_i32 s10, 0x80
	v_and_or_b32 v6, v2, s10, v3
.LBB9_1882:
	s_or_b64 exec, exec, s[12:13]
.LBB9_1883:
	s_or_b64 exec, exec, s[6:7]
	global_store_byte v[0:1], v6, off
.LBB9_1884:
	s_mov_b64 s[6:7], -1
.LBB9_1885:
	s_mov_b64 s[10:11], 0
.LBB9_1886:
	s_and_b64 vcc, exec, s[10:11]
	s_cbranch_vccz .LBB9_1926
; %bb.1887:
	s_cmp_gt_i32 s15, 22
	s_mov_b64 s[4:5], -1
	s_cbranch_scc0 .LBB9_1919
; %bb.1888:
	s_cmp_lt_i32 s15, 24
	s_cbranch_scc1 .LBB9_1908
; %bb.1889:
	s_cmp_gt_i32 s15, 24
	s_cbranch_scc0 .LBB9_1897
; %bb.1890:
	v_cvt_f32_f64_e32 v2, v[4:5]
	s_mov_b32 s4, 0x47800000
	v_mov_b32_e32 v6, 0x80
	v_and_b32_e32 v3, 0x7fffffff, v2
	v_cmp_gt_u32_e32 vcc, s4, v3
	s_and_saveexec_b64 s[4:5], vcc
	s_cbranch_execz .LBB9_1896
; %bb.1891:
	s_mov_b32 s6, 0x37ffffff
	v_cmp_lt_u32_e32 vcc, s6, v3
	s_mov_b64 s[6:7], 0
                                        ; implicit-def: $vgpr3
	s_and_saveexec_b64 s[10:11], vcc
	s_xor_b64 s[10:11], exec, s[10:11]
	s_cbranch_execz .LBB9_2177
; %bb.1892:
	v_bfe_u32 v3, v2, 21, 1
	s_mov_b32 s12, 0x88fffff
	v_add3_u32 v3, v2, v3, s12
	s_mov_b64 s[6:7], exec
	v_lshrrev_b32_e32 v3, 21, v3
	s_andn2_saveexec_b64 s[10:11], s[10:11]
	s_cbranch_execnz .LBB9_2178
.LBB9_1893:
	s_or_b64 exec, exec, s[10:11]
	v_mov_b32_e32 v6, 0
	s_and_saveexec_b64 s[10:11], s[6:7]
.LBB9_1894:
	v_lshrrev_b32_e32 v2, 24, v2
	s_movk_i32 s6, 0x80
	v_and_or_b32 v6, v2, s6, v3
.LBB9_1895:
	s_or_b64 exec, exec, s[10:11]
.LBB9_1896:
	s_or_b64 exec, exec, s[4:5]
	s_mov_b64 s[4:5], 0
	global_store_byte v[0:1], v6, off
.LBB9_1897:
	s_and_b64 vcc, exec, s[4:5]
	s_cbranch_vccz .LBB9_1907
; %bb.1898:
	v_cvt_f32_f64_e32 v2, v[4:5]
	s_mov_b32 s4, 0x43f00000
                                        ; implicit-def: $vgpr3
	v_and_b32_e32 v6, 0x7fffffff, v2
	v_cmp_gt_u32_e32 vcc, s4, v6
	s_and_saveexec_b64 s[4:5], vcc
	s_xor_b64 s[4:5], exec, s[4:5]
	s_cbranch_execz .LBB9_1904
; %bb.1899:
	s_mov_b32 s6, 0x3c7fffff
	v_cmp_lt_u32_e32 vcc, s6, v6
                                        ; implicit-def: $vgpr3
	s_and_saveexec_b64 s[6:7], vcc
	s_xor_b64 s[6:7], exec, s[6:7]
; %bb.1900:
	v_bfe_u32 v3, v2, 20, 1
	s_mov_b32 s10, 0x407ffff
	v_add3_u32 v3, v2, v3, s10
	v_lshrrev_b32_e32 v6, 20, v3
	v_and_b32_e32 v3, 0xff00000, v3
	s_mov_b32 s10, 0x7f00000
	v_mov_b32_e32 v7, 0x7e
	v_cmp_ne_u32_e32 vcc, s10, v3
	v_cndmask_b32_e32 v3, v7, v6, vcc
; %bb.1901:
	s_andn2_saveexec_b64 s[6:7], s[6:7]
; %bb.1902:
	s_mov_b32 s10, 0x46800000
	v_add_f32_e64 v3, |v2|, s10
; %bb.1903:
	s_or_b64 exec, exec, s[6:7]
                                        ; implicit-def: $vgpr6
.LBB9_1904:
	s_andn2_saveexec_b64 s[4:5], s[4:5]
; %bb.1905:
	s_mov_b32 s6, 0x7f800000
	v_mov_b32_e32 v3, 0x7e
	v_mov_b32_e32 v7, 0x7f
	v_cmp_lt_u32_e32 vcc, s6, v6
	v_cndmask_b32_e32 v3, v3, v7, vcc
; %bb.1906:
	s_or_b64 exec, exec, s[4:5]
	v_lshrrev_b32_e32 v2, 24, v2
	s_movk_i32 s4, 0x80
	v_and_or_b32 v2, v2, s4, v3
	global_store_byte v[0:1], v2, off
.LBB9_1907:
	s_mov_b64 s[4:5], 0
.LBB9_1908:
	s_andn2_b64 vcc, exec, s[4:5]
	s_cbranch_vccnz .LBB9_1918
; %bb.1909:
	v_cvt_f32_f64_e32 v2, v[4:5]
	s_mov_b32 s4, 0x47800000
                                        ; implicit-def: $vgpr3
	v_and_b32_e32 v6, 0x7fffffff, v2
	v_cmp_gt_u32_e32 vcc, s4, v6
	s_and_saveexec_b64 s[4:5], vcc
	s_xor_b64 s[4:5], exec, s[4:5]
	s_cbranch_execz .LBB9_1915
; %bb.1910:
	s_mov_b32 s6, 0x387fffff
	v_cmp_lt_u32_e32 vcc, s6, v6
                                        ; implicit-def: $vgpr3
	s_and_saveexec_b64 s[6:7], vcc
	s_xor_b64 s[6:7], exec, s[6:7]
; %bb.1911:
	v_bfe_u32 v3, v2, 21, 1
	s_mov_b32 s10, 0x80fffff
	v_add3_u32 v3, v2, v3, s10
	v_lshrrev_b32_e32 v3, 21, v3
; %bb.1912:
	s_andn2_saveexec_b64 s[6:7], s[6:7]
; %bb.1913:
	s_mov_b32 s10, 0x43000000
	v_add_f32_e64 v3, |v2|, s10
; %bb.1914:
	s_or_b64 exec, exec, s[6:7]
                                        ; implicit-def: $vgpr6
.LBB9_1915:
	s_andn2_saveexec_b64 s[4:5], s[4:5]
; %bb.1916:
	s_mov_b32 s6, 0x7f800000
	v_mov_b32_e32 v3, 0x7c
	v_mov_b32_e32 v7, 0x7f
	v_cmp_lt_u32_e32 vcc, s6, v6
	v_cndmask_b32_e32 v3, v3, v7, vcc
; %bb.1917:
	s_or_b64 exec, exec, s[4:5]
	v_lshrrev_b32_e32 v2, 24, v2
	s_movk_i32 s4, 0x80
	v_and_or_b32 v2, v2, s4, v3
	global_store_byte v[0:1], v2, off
.LBB9_1918:
	s_mov_b64 s[4:5], 0
	s_mov_b64 s[6:7], -1
.LBB9_1919:
	s_andn2_b64 vcc, exec, s[4:5]
	s_mov_b64 s[4:5], 0
	s_cbranch_vccnz .LBB9_1926
; %bb.1920:
	s_cmp_gt_i32 s15, 14
	s_mov_b64 s[10:11], -1
	s_cbranch_scc0 .LBB9_1924
; %bb.1921:
	s_cmp_eq_u32 s15, 15
	s_mov_b64 s[0:1], -1
	s_cbranch_scc0 .LBB9_1923
; %bb.1922:
	v_cvt_f32_f64_e32 v2, v[4:5]
	s_movk_i32 s0, 0x7fff
	v_mov_b32_e32 v3, 0x7fc0
	s_mov_b64 s[6:7], -1
	v_bfe_u32 v6, v2, 16, 1
	v_cmp_o_f32_e32 vcc, v2, v2
	v_add3_u32 v2, v2, v6, s0
	v_cndmask_b32_sdwa v2, v3, v2, vcc dst_sel:DWORD dst_unused:UNUSED_PAD src0_sel:DWORD src1_sel:WORD_1
	global_store_short v[0:1], v2, off
	s_mov_b64 s[0:1], 0
.LBB9_1923:
	s_mov_b64 s[10:11], 0
.LBB9_1924:
	s_and_b64 vcc, exec, s[10:11]
	s_cbranch_vccz .LBB9_1926
; %bb.1925:
	s_cmp_lg_u32 s15, 11
	s_mov_b64 s[4:5], -1
	s_cselect_b64 s[0:1], -1, 0
.LBB9_1926:
	s_and_b64 vcc, exec, s[0:1]
	s_cbranch_vccnz .LBB9_2176
; %bb.1927:
	s_andn2_b64 vcc, exec, s[4:5]
	s_cbranch_vccnz .LBB9_1929
.LBB9_1928:
	v_cmp_neq_f64_e32 vcc, 0, v[4:5]
	s_mov_b64 s[6:7], -1
	v_cndmask_b32_e64 v2, 0, 1, vcc
	global_store_byte v[0:1], v2, off
.LBB9_1929:
	s_mov_b64 s[0:1], 0
	s_branch .LBB9_1931
.LBB9_1930:
	s_mov_b64 s[0:1], -1
	s_mov_b64 s[6:7], 0
.LBB9_1931:
	s_and_b64 vcc, exec, s[0:1]
	s_cbranch_vccz .LBB9_1970
; %bb.1932:
	s_and_b32 s4, 0xffff, s14
	s_cmp_lt_i32 s4, 5
	s_mov_b64 s[0:1], -1
	s_cbranch_scc1 .LBB9_1953
; %bb.1933:
	s_cmp_lt_i32 s4, 8
	s_cbranch_scc1 .LBB9_1943
; %bb.1934:
	s_cmp_lt_i32 s4, 9
	s_cbranch_scc1 .LBB9_1940
; %bb.1935:
	s_cmp_gt_i32 s4, 9
	s_cbranch_scc0 .LBB9_1937
; %bb.1936:
	v_mov_b32_e32 v6, 0
	v_mov_b32_e32 v7, v6
	global_store_dwordx4 v[0:1], v[4:7], off
	s_mov_b64 s[0:1], 0
.LBB9_1937:
	s_andn2_b64 vcc, exec, s[0:1]
	s_cbranch_vccnz .LBB9_1939
; %bb.1938:
	v_cvt_f32_f64_e32 v2, v[4:5]
	v_mov_b32_e32 v3, 0
	global_store_dwordx2 v[0:1], v[2:3], off
.LBB9_1939:
	s_mov_b64 s[0:1], 0
.LBB9_1940:
	s_andn2_b64 vcc, exec, s[0:1]
	s_cbranch_vccnz .LBB9_1942
; %bb.1941:
	s_movk_i32 s0, 0x1ff
	v_and_or_b32 v2, v5, s0, v4
	v_cmp_ne_u32_e32 vcc, 0, v2
	v_cndmask_b32_e64 v2, 0, 1, vcc
	v_lshrrev_b32_e32 v3, 8, v5
	s_movk_i32 s0, 0xffe
	v_bfe_u32 v6, v5, 20, 11
	v_and_or_b32 v2, v3, s0, v2
	v_sub_u32_e32 v7, 0x3f1, v6
	v_or_b32_e32 v3, 0x1000, v2
	v_med3_i32 v7, v7, 0, 13
	v_lshrrev_b32_e32 v11, v7, v3
	v_lshlrev_b32_e32 v7, v7, v11
	v_cmp_ne_u32_e32 vcc, v7, v3
	v_cndmask_b32_e64 v3, 0, 1, vcc
	v_add_u32_e32 v6, 0xfffffc10, v6
	v_or_b32_e32 v3, v11, v3
	v_lshl_or_b32 v7, v6, 12, v2
	v_cmp_gt_i32_e32 vcc, 1, v6
	v_cndmask_b32_e32 v3, v7, v3, vcc
	v_and_b32_e32 v7, 7, v3
	v_cmp_lt_i32_e32 vcc, 5, v7
	v_cndmask_b32_e64 v11, 0, 1, vcc
	v_cmp_eq_u32_e32 vcc, 3, v7
	v_cndmask_b32_e64 v7, 0, 1, vcc
	v_or_b32_e32 v7, v7, v11
	v_lshrrev_b32_e32 v3, 2, v3
	v_add_u32_e32 v3, v3, v7
	v_mov_b32_e32 v7, 0x7c00
	v_cmp_gt_i32_e32 vcc, 31, v6
	v_cndmask_b32_e32 v3, v7, v3, vcc
	v_mov_b32_e32 v11, 0x7e00
	v_cmp_ne_u32_e32 vcc, 0, v2
	s_movk_i32 s0, 0x40f
	v_cndmask_b32_e32 v2, v7, v11, vcc
	v_cmp_eq_u32_e32 vcc, s0, v6
	v_cndmask_b32_e32 v2, v3, v2, vcc
	v_lshrrev_b32_e32 v3, 16, v5
	s_mov_b32 s0, 0x8000
	v_and_or_b32 v2, v3, s0, v2
	v_and_b32_e32 v2, 0xffff, v2
	global_store_dword v[0:1], v2, off
.LBB9_1942:
	s_mov_b64 s[0:1], 0
.LBB9_1943:
	s_andn2_b64 vcc, exec, s[0:1]
	s_cbranch_vccnz .LBB9_1952
; %bb.1944:
	s_cmp_lt_i32 s4, 6
	s_mov_b64 s[0:1], -1
	s_cbranch_scc1 .LBB9_1950
; %bb.1945:
	s_cmp_gt_i32 s4, 6
	s_cbranch_scc0 .LBB9_1947
; %bb.1946:
	global_store_dwordx2 v[0:1], v[4:5], off
	s_mov_b64 s[0:1], 0
.LBB9_1947:
	s_andn2_b64 vcc, exec, s[0:1]
	s_cbranch_vccnz .LBB9_1949
; %bb.1948:
	v_cvt_f32_f64_e32 v2, v[4:5]
	global_store_dword v[0:1], v2, off
.LBB9_1949:
	s_mov_b64 s[0:1], 0
.LBB9_1950:
	s_andn2_b64 vcc, exec, s[0:1]
	s_cbranch_vccnz .LBB9_1952
; %bb.1951:
	s_movk_i32 s0, 0x1ff
	v_and_or_b32 v2, v5, s0, v4
	v_cmp_ne_u32_e32 vcc, 0, v2
	v_cndmask_b32_e64 v2, 0, 1, vcc
	v_lshrrev_b32_e32 v3, 8, v5
	s_movk_i32 s0, 0xffe
	v_bfe_u32 v6, v5, 20, 11
	v_and_or_b32 v2, v3, s0, v2
	v_sub_u32_e32 v7, 0x3f1, v6
	v_or_b32_e32 v3, 0x1000, v2
	v_med3_i32 v7, v7, 0, 13
	v_lshrrev_b32_e32 v11, v7, v3
	v_lshlrev_b32_e32 v7, v7, v11
	v_cmp_ne_u32_e32 vcc, v7, v3
	v_cndmask_b32_e64 v3, 0, 1, vcc
	v_add_u32_e32 v6, 0xfffffc10, v6
	v_or_b32_e32 v3, v11, v3
	v_lshl_or_b32 v7, v6, 12, v2
	v_cmp_gt_i32_e32 vcc, 1, v6
	v_cndmask_b32_e32 v3, v7, v3, vcc
	v_and_b32_e32 v7, 7, v3
	v_cmp_lt_i32_e32 vcc, 5, v7
	v_cndmask_b32_e64 v11, 0, 1, vcc
	v_cmp_eq_u32_e32 vcc, 3, v7
	v_cndmask_b32_e64 v7, 0, 1, vcc
	v_or_b32_e32 v7, v7, v11
	v_lshrrev_b32_e32 v3, 2, v3
	v_add_u32_e32 v3, v3, v7
	v_mov_b32_e32 v7, 0x7c00
	v_cmp_gt_i32_e32 vcc, 31, v6
	v_cndmask_b32_e32 v3, v7, v3, vcc
	v_mov_b32_e32 v11, 0x7e00
	v_cmp_ne_u32_e32 vcc, 0, v2
	s_movk_i32 s0, 0x40f
	v_cndmask_b32_e32 v2, v7, v11, vcc
	v_cmp_eq_u32_e32 vcc, s0, v6
	v_cndmask_b32_e32 v2, v3, v2, vcc
	v_lshrrev_b32_e32 v3, 16, v5
	s_mov_b32 s0, 0x8000
	v_and_or_b32 v2, v3, s0, v2
	global_store_short v[0:1], v2, off
.LBB9_1952:
	s_mov_b64 s[0:1], 0
.LBB9_1953:
	s_andn2_b64 vcc, exec, s[0:1]
	s_cbranch_vccnz .LBB9_1969
; %bb.1954:
	s_cmp_lt_i32 s4, 2
	s_mov_b64 s[0:1], -1
	s_cbranch_scc1 .LBB9_1964
; %bb.1955:
	s_cmp_lt_i32 s4, 3
	s_cbranch_scc1 .LBB9_1961
; %bb.1956:
	s_cmp_gt_i32 s4, 3
	s_cbranch_scc0 .LBB9_1958
; %bb.1957:
	v_trunc_f64_e32 v[2:3], v[4:5]
	s_movk_i32 s0, 0xffe0
	v_ldexp_f64 v[6:7], v[2:3], s0
	s_mov_b32 s0, 0
	s_mov_b32 s1, 0xc1f00000
	v_floor_f64_e32 v[6:7], v[6:7]
	v_fma_f64 v[2:3], v[6:7], s[0:1], v[2:3]
	v_cvt_i32_f64_e32 v7, v[6:7]
	s_mov_b64 s[0:1], 0
	v_cvt_u32_f64_e32 v6, v[2:3]
	global_store_dwordx2 v[0:1], v[6:7], off
.LBB9_1958:
	s_andn2_b64 vcc, exec, s[0:1]
	s_cbranch_vccnz .LBB9_1960
; %bb.1959:
	v_cvt_i32_f64_e32 v2, v[4:5]
	global_store_dword v[0:1], v2, off
.LBB9_1960:
	s_mov_b64 s[0:1], 0
.LBB9_1961:
	s_andn2_b64 vcc, exec, s[0:1]
	s_cbranch_vccnz .LBB9_1963
; %bb.1962:
	v_cvt_i32_f64_e32 v2, v[4:5]
	global_store_short v[0:1], v2, off
.LBB9_1963:
	s_mov_b64 s[0:1], 0
.LBB9_1964:
	s_andn2_b64 vcc, exec, s[0:1]
	s_cbranch_vccnz .LBB9_1969
; %bb.1965:
	s_cmp_gt_i32 s4, 0
	s_mov_b64 s[0:1], -1
	s_cbranch_scc0 .LBB9_1967
; %bb.1966:
	v_cvt_i32_f64_e32 v2, v[4:5]
	s_mov_b64 s[0:1], 0
	global_store_byte v[0:1], v2, off
.LBB9_1967:
	s_andn2_b64 vcc, exec, s[0:1]
	s_cbranch_vccnz .LBB9_1969
; %bb.1968:
	v_trunc_f64_e32 v[2:3], v[4:5]
	s_movk_i32 s0, 0xffe0
	v_ldexp_f64 v[4:5], v[2:3], s0
	s_mov_b32 s0, 0
	s_mov_b32 s1, 0xc1f00000
	v_floor_f64_e32 v[4:5], v[4:5]
	v_fma_f64 v[2:3], v[4:5], s[0:1], v[2:3]
	v_cvt_u32_f64_e32 v2, v[2:3]
	global_store_byte v[0:1], v2, off
.LBB9_1969:
	s_mov_b64 s[6:7], -1
.LBB9_1970:
	s_andn2_b64 vcc, exec, s[6:7]
	s_cbranch_vccnz .LBB9_2166
; %bb.1971:
	v_mov_b32_e32 v1, s9
	v_add_co_u32_e32 v0, vcc, s8, v10
	s_cmp_lt_i32 s14, 11
	v_addc_co_u32_e32 v1, vcc, 0, v1, vcc
	s_cbranch_scc1 .LBB9_2049
; %bb.1972:
	s_and_b32 s15, 0xffff, s14
	s_mov_b64 s[10:11], -1
	s_mov_b64 s[4:5], 0
	s_cmp_gt_i32 s15, 25
	s_mov_b64 s[6:7], 0
	s_mov_b64 s[0:1], 0
	s_cbranch_scc0 .LBB9_2005
; %bb.1973:
	s_cmp_gt_i32 s15, 28
	s_cbranch_scc0 .LBB9_1988
; %bb.1974:
	s_cmp_gt_i32 s15, 43
	;; [unrolled: 3-line block ×3, first 2 shown]
	s_cbranch_scc0 .LBB9_1978
; %bb.1976:
	s_mov_b64 s[0:1], -1
	s_mov_b64 s[10:11], 0
	s_cmp_eq_u32 s15, 46
	s_cbranch_scc0 .LBB9_1978
; %bb.1977:
	v_cvt_f32_f64_e32 v2, v[8:9]
	s_movk_i32 s0, 0x7fff
	v_mov_b32_e32 v3, 0x7fc0
	s_mov_b64 s[6:7], -1
	v_bfe_u32 v4, v2, 16, 1
	v_cmp_o_f32_e32 vcc, v2, v2
	v_add3_u32 v2, v2, v4, s0
	v_cndmask_b32_sdwa v2, v3, v2, vcc dst_sel:DWORD dst_unused:UNUSED_PAD src0_sel:DWORD src1_sel:WORD_1
	global_store_dword v[0:1], v2, off
	s_mov_b64 s[0:1], 0
.LBB9_1978:
	s_and_b64 vcc, exec, s[10:11]
	s_cbranch_vccz .LBB9_1983
; %bb.1979:
	s_cmp_eq_u32 s15, 44
	s_mov_b64 s[0:1], -1
	s_cbranch_scc0 .LBB9_1983
; %bb.1980:
	v_cvt_f32_f64_e32 v2, v[8:9]
	s_movk_i32 s0, 0xff
	v_mov_b32_e32 v4, 0xff
	v_bfe_u32 v3, v2, 23, 8
	v_cmp_ne_u32_e32 vcc, s0, v3
	s_and_saveexec_b64 s[6:7], vcc
; %bb.1981:
	s_mov_b32 s0, 0x3fffff
	v_lshrrev_b32_e32 v4, 23, v2
	v_and_b32_e32 v5, 0x400000, v2
	v_and_or_b32 v2, v2, s0, v3
	v_cmp_ne_u32_e32 vcc, 0, v5
	v_cmp_ne_u32_e64 s[0:1], 0, v2
	s_and_b64 s[0:1], vcc, s[0:1]
	v_cndmask_b32_e64 v2, 0, 1, s[0:1]
	v_add_u32_e32 v4, v4, v2
; %bb.1982:
	s_or_b64 exec, exec, s[6:7]
	s_mov_b64 s[0:1], 0
	s_mov_b64 s[6:7], -1
	global_store_byte v[0:1], v4, off
.LBB9_1983:
	s_mov_b64 s[10:11], 0
.LBB9_1984:
	s_and_b64 vcc, exec, s[10:11]
	s_cbranch_vccz .LBB9_1987
; %bb.1985:
	s_cmp_eq_u32 s15, 29
	s_mov_b64 s[0:1], -1
	s_cbranch_scc0 .LBB9_1987
; %bb.1986:
	v_trunc_f64_e32 v[2:3], v[8:9]
	s_movk_i32 s0, 0xffe0
	s_mov_b64 s[6:7], -1
	v_ldexp_f64 v[4:5], v[2:3], s0
	s_mov_b32 s0, 0
	s_mov_b32 s1, 0xc1f00000
	v_floor_f64_e32 v[4:5], v[4:5]
	v_fma_f64 v[2:3], v[4:5], s[0:1], v[2:3]
	v_cvt_u32_f64_e32 v4, v[4:5]
	s_mov_b64 s[0:1], 0
	v_cvt_u32_f64_e32 v3, v[2:3]
	global_store_dwordx2 v[0:1], v[3:4], off
.LBB9_1987:
	s_mov_b64 s[10:11], 0
.LBB9_1988:
	s_and_b64 vcc, exec, s[10:11]
	s_cbranch_vccz .LBB9_2004
; %bb.1989:
	s_cmp_lt_i32 s15, 27
	s_mov_b64 s[6:7], -1
	s_cbranch_scc1 .LBB9_1995
; %bb.1990:
	v_cvt_u32_f64_e32 v2, v[8:9]
	s_cmp_gt_i32 s15, 27
	s_cbranch_scc0 .LBB9_1992
; %bb.1991:
	s_mov_b64 s[6:7], 0
	global_store_dword v[0:1], v2, off
.LBB9_1992:
	s_andn2_b64 vcc, exec, s[6:7]
	s_cbranch_vccnz .LBB9_1994
; %bb.1993:
	global_store_short v[0:1], v2, off
.LBB9_1994:
	s_mov_b64 s[6:7], 0
.LBB9_1995:
	s_andn2_b64 vcc, exec, s[6:7]
	s_cbranch_vccnz .LBB9_2003
; %bb.1996:
	v_cvt_f32_f64_e32 v2, v[8:9]
	s_mov_b32 s6, 0x43800000
	v_mov_b32_e32 v4, 0x80
	v_and_b32_e32 v3, 0x7fffffff, v2
	v_cmp_gt_u32_e32 vcc, s6, v3
	s_and_saveexec_b64 s[6:7], vcc
	s_cbranch_execz .LBB9_2002
; %bb.1997:
	s_mov_b32 s10, 0x3bffffff
	v_cmp_lt_u32_e32 vcc, s10, v3
	s_mov_b64 s[10:11], 0
                                        ; implicit-def: $vgpr3
	s_and_saveexec_b64 s[12:13], vcc
	s_xor_b64 s[12:13], exec, s[12:13]
	s_cbranch_execz .LBB9_2179
; %bb.1998:
	v_bfe_u32 v3, v2, 20, 1
	s_mov_b32 s16, 0x487ffff
	v_add3_u32 v3, v2, v3, s16
	s_mov_b64 s[10:11], exec
	v_lshrrev_b32_e32 v3, 20, v3
	s_andn2_saveexec_b64 s[12:13], s[12:13]
	s_cbranch_execnz .LBB9_2180
.LBB9_1999:
	s_or_b64 exec, exec, s[12:13]
	v_mov_b32_e32 v4, 0
	s_and_saveexec_b64 s[12:13], s[10:11]
.LBB9_2000:
	v_lshrrev_b32_e32 v2, 24, v2
	s_movk_i32 s10, 0x80
	v_and_or_b32 v4, v2, s10, v3
.LBB9_2001:
	s_or_b64 exec, exec, s[12:13]
.LBB9_2002:
	s_or_b64 exec, exec, s[6:7]
	global_store_byte v[0:1], v4, off
.LBB9_2003:
	s_mov_b64 s[6:7], -1
.LBB9_2004:
	s_mov_b64 s[10:11], 0
.LBB9_2005:
	s_and_b64 vcc, exec, s[10:11]
	s_cbranch_vccz .LBB9_2045
; %bb.2006:
	s_cmp_gt_i32 s15, 22
	s_mov_b64 s[4:5], -1
	s_cbranch_scc0 .LBB9_2038
; %bb.2007:
	s_cmp_lt_i32 s15, 24
	s_cbranch_scc1 .LBB9_2027
; %bb.2008:
	s_cmp_gt_i32 s15, 24
	s_cbranch_scc0 .LBB9_2016
; %bb.2009:
	v_cvt_f32_f64_e32 v2, v[8:9]
	s_mov_b32 s4, 0x47800000
	v_mov_b32_e32 v4, 0x80
	v_and_b32_e32 v3, 0x7fffffff, v2
	v_cmp_gt_u32_e32 vcc, s4, v3
	s_and_saveexec_b64 s[4:5], vcc
	s_cbranch_execz .LBB9_2015
; %bb.2010:
	s_mov_b32 s6, 0x37ffffff
	v_cmp_lt_u32_e32 vcc, s6, v3
	s_mov_b64 s[6:7], 0
                                        ; implicit-def: $vgpr3
	s_and_saveexec_b64 s[10:11], vcc
	s_xor_b64 s[10:11], exec, s[10:11]
	s_cbranch_execz .LBB9_2182
; %bb.2011:
	v_bfe_u32 v3, v2, 21, 1
	s_mov_b32 s12, 0x88fffff
	v_add3_u32 v3, v2, v3, s12
	s_mov_b64 s[6:7], exec
	v_lshrrev_b32_e32 v3, 21, v3
	s_andn2_saveexec_b64 s[10:11], s[10:11]
	s_cbranch_execnz .LBB9_2183
.LBB9_2012:
	s_or_b64 exec, exec, s[10:11]
	v_mov_b32_e32 v4, 0
	s_and_saveexec_b64 s[10:11], s[6:7]
.LBB9_2013:
	v_lshrrev_b32_e32 v2, 24, v2
	s_movk_i32 s6, 0x80
	v_and_or_b32 v4, v2, s6, v3
.LBB9_2014:
	s_or_b64 exec, exec, s[10:11]
.LBB9_2015:
	s_or_b64 exec, exec, s[4:5]
	s_mov_b64 s[4:5], 0
	global_store_byte v[0:1], v4, off
.LBB9_2016:
	s_and_b64 vcc, exec, s[4:5]
	s_cbranch_vccz .LBB9_2026
; %bb.2017:
	v_cvt_f32_f64_e32 v2, v[8:9]
	s_mov_b32 s4, 0x43f00000
                                        ; implicit-def: $vgpr3
	v_and_b32_e32 v4, 0x7fffffff, v2
	v_cmp_gt_u32_e32 vcc, s4, v4
	s_and_saveexec_b64 s[4:5], vcc
	s_xor_b64 s[4:5], exec, s[4:5]
	s_cbranch_execz .LBB9_2023
; %bb.2018:
	s_mov_b32 s6, 0x3c7fffff
	v_cmp_lt_u32_e32 vcc, s6, v4
                                        ; implicit-def: $vgpr3
	s_and_saveexec_b64 s[6:7], vcc
	s_xor_b64 s[6:7], exec, s[6:7]
; %bb.2019:
	v_bfe_u32 v3, v2, 20, 1
	s_mov_b32 s10, 0x407ffff
	v_add3_u32 v3, v2, v3, s10
	v_lshrrev_b32_e32 v4, 20, v3
	v_and_b32_e32 v3, 0xff00000, v3
	s_mov_b32 s10, 0x7f00000
	v_mov_b32_e32 v5, 0x7e
	v_cmp_ne_u32_e32 vcc, s10, v3
	v_cndmask_b32_e32 v3, v5, v4, vcc
; %bb.2020:
	s_andn2_saveexec_b64 s[6:7], s[6:7]
; %bb.2021:
	s_mov_b32 s10, 0x46800000
	v_add_f32_e64 v3, |v2|, s10
; %bb.2022:
	s_or_b64 exec, exec, s[6:7]
                                        ; implicit-def: $vgpr4
.LBB9_2023:
	s_andn2_saveexec_b64 s[4:5], s[4:5]
; %bb.2024:
	s_mov_b32 s6, 0x7f800000
	v_mov_b32_e32 v3, 0x7e
	v_mov_b32_e32 v5, 0x7f
	v_cmp_lt_u32_e32 vcc, s6, v4
	v_cndmask_b32_e32 v3, v3, v5, vcc
; %bb.2025:
	s_or_b64 exec, exec, s[4:5]
	v_lshrrev_b32_e32 v2, 24, v2
	s_movk_i32 s4, 0x80
	v_and_or_b32 v2, v2, s4, v3
	global_store_byte v[0:1], v2, off
.LBB9_2026:
	s_mov_b64 s[4:5], 0
.LBB9_2027:
	s_andn2_b64 vcc, exec, s[4:5]
	s_cbranch_vccnz .LBB9_2037
; %bb.2028:
	v_cvt_f32_f64_e32 v2, v[8:9]
	s_mov_b32 s4, 0x47800000
                                        ; implicit-def: $vgpr3
	v_and_b32_e32 v4, 0x7fffffff, v2
	v_cmp_gt_u32_e32 vcc, s4, v4
	s_and_saveexec_b64 s[4:5], vcc
	s_xor_b64 s[4:5], exec, s[4:5]
	s_cbranch_execz .LBB9_2034
; %bb.2029:
	s_mov_b32 s6, 0x387fffff
	v_cmp_lt_u32_e32 vcc, s6, v4
                                        ; implicit-def: $vgpr3
	s_and_saveexec_b64 s[6:7], vcc
	s_xor_b64 s[6:7], exec, s[6:7]
; %bb.2030:
	v_bfe_u32 v3, v2, 21, 1
	s_mov_b32 s10, 0x80fffff
	v_add3_u32 v3, v2, v3, s10
	v_lshrrev_b32_e32 v3, 21, v3
; %bb.2031:
	s_andn2_saveexec_b64 s[6:7], s[6:7]
; %bb.2032:
	s_mov_b32 s10, 0x43000000
	v_add_f32_e64 v3, |v2|, s10
; %bb.2033:
	s_or_b64 exec, exec, s[6:7]
                                        ; implicit-def: $vgpr4
.LBB9_2034:
	s_andn2_saveexec_b64 s[4:5], s[4:5]
; %bb.2035:
	s_mov_b32 s6, 0x7f800000
	v_mov_b32_e32 v3, 0x7c
	v_mov_b32_e32 v5, 0x7f
	v_cmp_lt_u32_e32 vcc, s6, v4
	v_cndmask_b32_e32 v3, v3, v5, vcc
; %bb.2036:
	s_or_b64 exec, exec, s[4:5]
	v_lshrrev_b32_e32 v2, 24, v2
	s_movk_i32 s4, 0x80
	v_and_or_b32 v2, v2, s4, v3
	global_store_byte v[0:1], v2, off
.LBB9_2037:
	s_mov_b64 s[4:5], 0
	s_mov_b64 s[6:7], -1
.LBB9_2038:
	s_andn2_b64 vcc, exec, s[4:5]
	s_mov_b64 s[4:5], 0
	s_cbranch_vccnz .LBB9_2045
; %bb.2039:
	s_cmp_gt_i32 s15, 14
	s_mov_b64 s[10:11], -1
	s_cbranch_scc0 .LBB9_2043
; %bb.2040:
	s_cmp_eq_u32 s15, 15
	s_mov_b64 s[0:1], -1
	s_cbranch_scc0 .LBB9_2042
; %bb.2041:
	v_cvt_f32_f64_e32 v2, v[8:9]
	s_movk_i32 s0, 0x7fff
	v_mov_b32_e32 v3, 0x7fc0
	s_mov_b64 s[6:7], -1
	v_bfe_u32 v4, v2, 16, 1
	v_cmp_o_f32_e32 vcc, v2, v2
	v_add3_u32 v2, v2, v4, s0
	v_cndmask_b32_sdwa v2, v3, v2, vcc dst_sel:DWORD dst_unused:UNUSED_PAD src0_sel:DWORD src1_sel:WORD_1
	global_store_short v[0:1], v2, off
	s_mov_b64 s[0:1], 0
.LBB9_2042:
	s_mov_b64 s[10:11], 0
.LBB9_2043:
	s_and_b64 vcc, exec, s[10:11]
	s_cbranch_vccz .LBB9_2045
; %bb.2044:
	s_cmp_lg_u32 s15, 11
	s_mov_b64 s[4:5], -1
	s_cselect_b64 s[0:1], -1, 0
.LBB9_2045:
	s_and_b64 vcc, exec, s[0:1]
	s_cbranch_vccnz .LBB9_2181
; %bb.2046:
	s_andn2_b64 vcc, exec, s[4:5]
	s_cbranch_vccnz .LBB9_2048
.LBB9_2047:
	v_cmp_neq_f64_e32 vcc, 0, v[8:9]
	s_mov_b64 s[6:7], -1
	v_cndmask_b32_e64 v2, 0, 1, vcc
	global_store_byte v[0:1], v2, off
.LBB9_2048:
	s_mov_b64 s[0:1], 0
	s_branch .LBB9_2050
.LBB9_2049:
	s_mov_b64 s[0:1], -1
	s_mov_b64 s[6:7], 0
.LBB9_2050:
	s_and_b64 vcc, exec, s[0:1]
	s_cbranch_vccz .LBB9_2089
; %bb.2051:
	s_and_b32 s4, 0xffff, s14
	s_cmp_lt_i32 s4, 5
	s_mov_b64 s[0:1], -1
	s_cbranch_scc1 .LBB9_2072
; %bb.2052:
	s_cmp_lt_i32 s4, 8
	s_cbranch_scc1 .LBB9_2062
; %bb.2053:
	s_cmp_lt_i32 s4, 9
	s_cbranch_scc1 .LBB9_2059
; %bb.2054:
	s_cmp_gt_i32 s4, 9
	s_cbranch_scc0 .LBB9_2056
; %bb.2055:
	v_mov_b32_e32 v10, 0
	v_mov_b32_e32 v11, v10
	global_store_dwordx4 v[0:1], v[8:11], off
	s_mov_b64 s[0:1], 0
.LBB9_2056:
	s_andn2_b64 vcc, exec, s[0:1]
	s_cbranch_vccnz .LBB9_2058
; %bb.2057:
	v_cvt_f32_f64_e32 v2, v[8:9]
	v_mov_b32_e32 v3, 0
	global_store_dwordx2 v[0:1], v[2:3], off
.LBB9_2058:
	s_mov_b64 s[0:1], 0
.LBB9_2059:
	s_andn2_b64 vcc, exec, s[0:1]
	s_cbranch_vccnz .LBB9_2061
; %bb.2060:
	s_movk_i32 s0, 0x1ff
	v_and_or_b32 v2, v9, s0, v8
	v_cmp_ne_u32_e32 vcc, 0, v2
	v_cndmask_b32_e64 v2, 0, 1, vcc
	v_lshrrev_b32_e32 v3, 8, v9
	s_movk_i32 s0, 0xffe
	v_bfe_u32 v4, v9, 20, 11
	v_and_or_b32 v2, v3, s0, v2
	v_sub_u32_e32 v5, 0x3f1, v4
	v_or_b32_e32 v3, 0x1000, v2
	v_med3_i32 v5, v5, 0, 13
	v_lshrrev_b32_e32 v6, v5, v3
	v_lshlrev_b32_e32 v5, v5, v6
	v_cmp_ne_u32_e32 vcc, v5, v3
	v_cndmask_b32_e64 v3, 0, 1, vcc
	v_add_u32_e32 v4, 0xfffffc10, v4
	v_or_b32_e32 v3, v6, v3
	v_lshl_or_b32 v5, v4, 12, v2
	v_cmp_gt_i32_e32 vcc, 1, v4
	v_cndmask_b32_e32 v3, v5, v3, vcc
	v_and_b32_e32 v5, 7, v3
	v_cmp_lt_i32_e32 vcc, 5, v5
	v_cndmask_b32_e64 v6, 0, 1, vcc
	v_cmp_eq_u32_e32 vcc, 3, v5
	v_cndmask_b32_e64 v5, 0, 1, vcc
	v_or_b32_e32 v5, v5, v6
	v_lshrrev_b32_e32 v3, 2, v3
	v_add_u32_e32 v3, v3, v5
	v_mov_b32_e32 v5, 0x7c00
	v_cmp_gt_i32_e32 vcc, 31, v4
	v_cndmask_b32_e32 v3, v5, v3, vcc
	v_mov_b32_e32 v6, 0x7e00
	v_cmp_ne_u32_e32 vcc, 0, v2
	s_movk_i32 s0, 0x40f
	v_cndmask_b32_e32 v2, v5, v6, vcc
	v_cmp_eq_u32_e32 vcc, s0, v4
	v_cndmask_b32_e32 v2, v3, v2, vcc
	v_lshrrev_b32_e32 v3, 16, v9
	s_mov_b32 s0, 0x8000
	v_and_or_b32 v2, v3, s0, v2
	v_and_b32_e32 v2, 0xffff, v2
	global_store_dword v[0:1], v2, off
.LBB9_2061:
	s_mov_b64 s[0:1], 0
.LBB9_2062:
	s_andn2_b64 vcc, exec, s[0:1]
	s_cbranch_vccnz .LBB9_2071
; %bb.2063:
	s_cmp_lt_i32 s4, 6
	s_mov_b64 s[0:1], -1
	s_cbranch_scc1 .LBB9_2069
; %bb.2064:
	s_cmp_gt_i32 s4, 6
	s_cbranch_scc0 .LBB9_2066
; %bb.2065:
	global_store_dwordx2 v[0:1], v[8:9], off
	s_mov_b64 s[0:1], 0
.LBB9_2066:
	s_andn2_b64 vcc, exec, s[0:1]
	s_cbranch_vccnz .LBB9_2068
; %bb.2067:
	v_cvt_f32_f64_e32 v2, v[8:9]
	global_store_dword v[0:1], v2, off
.LBB9_2068:
	s_mov_b64 s[0:1], 0
.LBB9_2069:
	s_andn2_b64 vcc, exec, s[0:1]
	s_cbranch_vccnz .LBB9_2071
; %bb.2070:
	s_movk_i32 s0, 0x1ff
	v_and_or_b32 v2, v9, s0, v8
	v_cmp_ne_u32_e32 vcc, 0, v2
	v_cndmask_b32_e64 v2, 0, 1, vcc
	v_lshrrev_b32_e32 v3, 8, v9
	s_movk_i32 s0, 0xffe
	v_bfe_u32 v4, v9, 20, 11
	v_and_or_b32 v2, v3, s0, v2
	v_sub_u32_e32 v5, 0x3f1, v4
	v_or_b32_e32 v3, 0x1000, v2
	v_med3_i32 v5, v5, 0, 13
	v_lshrrev_b32_e32 v6, v5, v3
	v_lshlrev_b32_e32 v5, v5, v6
	v_cmp_ne_u32_e32 vcc, v5, v3
	v_cndmask_b32_e64 v3, 0, 1, vcc
	v_add_u32_e32 v4, 0xfffffc10, v4
	v_or_b32_e32 v3, v6, v3
	v_lshl_or_b32 v5, v4, 12, v2
	v_cmp_gt_i32_e32 vcc, 1, v4
	v_cndmask_b32_e32 v3, v5, v3, vcc
	v_and_b32_e32 v5, 7, v3
	v_cmp_lt_i32_e32 vcc, 5, v5
	v_cndmask_b32_e64 v6, 0, 1, vcc
	v_cmp_eq_u32_e32 vcc, 3, v5
	v_cndmask_b32_e64 v5, 0, 1, vcc
	v_or_b32_e32 v5, v5, v6
	v_lshrrev_b32_e32 v3, 2, v3
	v_add_u32_e32 v3, v3, v5
	v_mov_b32_e32 v5, 0x7c00
	v_cmp_gt_i32_e32 vcc, 31, v4
	v_cndmask_b32_e32 v3, v5, v3, vcc
	v_mov_b32_e32 v6, 0x7e00
	v_cmp_ne_u32_e32 vcc, 0, v2
	s_movk_i32 s0, 0x40f
	v_cndmask_b32_e32 v2, v5, v6, vcc
	v_cmp_eq_u32_e32 vcc, s0, v4
	v_cndmask_b32_e32 v2, v3, v2, vcc
	v_lshrrev_b32_e32 v3, 16, v9
	s_mov_b32 s0, 0x8000
	v_and_or_b32 v2, v3, s0, v2
	global_store_short v[0:1], v2, off
.LBB9_2071:
	s_mov_b64 s[0:1], 0
.LBB9_2072:
	s_andn2_b64 vcc, exec, s[0:1]
	s_cbranch_vccnz .LBB9_2088
; %bb.2073:
	s_cmp_lt_i32 s4, 2
	s_mov_b64 s[0:1], -1
	s_cbranch_scc1 .LBB9_2083
; %bb.2074:
	s_cmp_lt_i32 s4, 3
	s_cbranch_scc1 .LBB9_2080
; %bb.2075:
	s_cmp_gt_i32 s4, 3
	s_cbranch_scc0 .LBB9_2077
; %bb.2076:
	v_trunc_f64_e32 v[2:3], v[8:9]
	s_movk_i32 s0, 0xffe0
	v_ldexp_f64 v[4:5], v[2:3], s0
	s_mov_b32 s0, 0
	s_mov_b32 s1, 0xc1f00000
	v_floor_f64_e32 v[4:5], v[4:5]
	v_fma_f64 v[2:3], v[4:5], s[0:1], v[2:3]
	v_cvt_i32_f64_e32 v4, v[4:5]
	s_mov_b64 s[0:1], 0
	v_cvt_u32_f64_e32 v3, v[2:3]
	global_store_dwordx2 v[0:1], v[3:4], off
.LBB9_2077:
	s_andn2_b64 vcc, exec, s[0:1]
	s_cbranch_vccnz .LBB9_2079
; %bb.2078:
	v_cvt_i32_f64_e32 v2, v[8:9]
	global_store_dword v[0:1], v2, off
.LBB9_2079:
	s_mov_b64 s[0:1], 0
.LBB9_2080:
	s_andn2_b64 vcc, exec, s[0:1]
	s_cbranch_vccnz .LBB9_2082
; %bb.2081:
	v_cvt_i32_f64_e32 v2, v[8:9]
	global_store_short v[0:1], v2, off
.LBB9_2082:
	s_mov_b64 s[0:1], 0
.LBB9_2083:
	s_andn2_b64 vcc, exec, s[0:1]
	s_cbranch_vccnz .LBB9_2088
; %bb.2084:
	s_cmp_gt_i32 s4, 0
	s_mov_b64 s[0:1], -1
	s_cbranch_scc0 .LBB9_2086
; %bb.2085:
	v_cvt_i32_f64_e32 v2, v[8:9]
	s_mov_b64 s[0:1], 0
	global_store_byte v[0:1], v2, off
.LBB9_2086:
	s_andn2_b64 vcc, exec, s[0:1]
	s_cbranch_vccnz .LBB9_2088
; %bb.2087:
	v_trunc_f64_e32 v[2:3], v[8:9]
	s_movk_i32 s0, 0xffe0
	v_ldexp_f64 v[4:5], v[2:3], s0
	s_mov_b32 s0, 0
	s_mov_b32 s1, 0xc1f00000
	v_floor_f64_e32 v[4:5], v[4:5]
	v_fma_f64 v[2:3], v[4:5], s[0:1], v[2:3]
	v_cvt_u32_f64_e32 v2, v[2:3]
	global_store_byte v[0:1], v2, off
.LBB9_2088:
	s_mov_b64 s[6:7], -1
.LBB9_2089:
	s_andn2_b64 vcc, exec, s[6:7]
	s_cbranch_vccnz .LBB9_2166
; %bb.2090:
	v_mov_b32_e32 v1, s9
	v_add_co_u32_e32 v0, vcc, s8, v14
	s_cmp_lt_i32 s14, 11
	v_addc_co_u32_e32 v1, vcc, 0, v1, vcc
	s_cbranch_scc1 .LBB9_2167
; %bb.2091:
	s_and_b32 s12, 0xffff, s14
	s_mov_b64 s[6:7], -1
	s_mov_b64 s[4:5], 0
	s_cmp_gt_i32 s12, 25
	s_mov_b64 s[0:1], 0
	s_cbranch_scc0 .LBB9_2124
; %bb.2092:
	s_cmp_gt_i32 s12, 28
	s_cbranch_scc0 .LBB9_2108
; %bb.2093:
	s_cmp_gt_i32 s12, 43
	;; [unrolled: 3-line block ×3, first 2 shown]
	s_cbranch_scc0 .LBB9_2098
; %bb.2095:
	s_cmp_eq_u32 s12, 46
	s_mov_b64 s[0:1], -1
	s_cbranch_scc0 .LBB9_2097
; %bb.2096:
	v_cvt_f32_f64_e32 v2, v[12:13]
	s_movk_i32 s0, 0x7fff
	v_mov_b32_e32 v3, 0x7fc0
	v_bfe_u32 v4, v2, 16, 1
	v_cmp_o_f32_e32 vcc, v2, v2
	v_add3_u32 v2, v2, v4, s0
	v_cndmask_b32_sdwa v2, v3, v2, vcc dst_sel:DWORD dst_unused:UNUSED_PAD src0_sel:DWORD src1_sel:WORD_1
	global_store_dword v[0:1], v2, off
	s_mov_b64 s[0:1], 0
.LBB9_2097:
	s_mov_b64 s[6:7], 0
.LBB9_2098:
	s_and_b64 vcc, exec, s[6:7]
	s_cbranch_vccz .LBB9_2103
; %bb.2099:
	s_cmp_eq_u32 s12, 44
	s_mov_b64 s[0:1], -1
	s_cbranch_scc0 .LBB9_2103
; %bb.2100:
	v_cvt_f32_f64_e32 v2, v[12:13]
	s_movk_i32 s0, 0xff
	v_mov_b32_e32 v4, 0xff
	v_bfe_u32 v3, v2, 23, 8
	v_cmp_ne_u32_e32 vcc, s0, v3
	s_and_saveexec_b64 s[6:7], vcc
; %bb.2101:
	s_mov_b32 s0, 0x3fffff
	v_lshrrev_b32_e32 v4, 23, v2
	v_and_b32_e32 v5, 0x400000, v2
	v_and_or_b32 v2, v2, s0, v3
	v_cmp_ne_u32_e32 vcc, 0, v5
	v_cmp_ne_u32_e64 s[0:1], 0, v2
	s_and_b64 s[0:1], vcc, s[0:1]
	v_cndmask_b32_e64 v2, 0, 1, s[0:1]
	v_add_u32_e32 v4, v4, v2
; %bb.2102:
	s_or_b64 exec, exec, s[6:7]
	s_mov_b64 s[0:1], 0
	global_store_byte v[0:1], v4, off
.LBB9_2103:
	s_mov_b64 s[6:7], 0
.LBB9_2104:
	s_and_b64 vcc, exec, s[6:7]
	s_cbranch_vccz .LBB9_2107
; %bb.2105:
	s_cmp_eq_u32 s12, 29
	s_mov_b64 s[0:1], -1
	s_cbranch_scc0 .LBB9_2107
; %bb.2106:
	v_trunc_f64_e32 v[2:3], v[12:13]
	s_movk_i32 s0, 0xffe0
	v_ldexp_f64 v[4:5], v[2:3], s0
	s_mov_b32 s0, 0
	s_mov_b32 s1, 0xc1f00000
	v_floor_f64_e32 v[4:5], v[4:5]
	v_fma_f64 v[2:3], v[4:5], s[0:1], v[2:3]
	v_cvt_u32_f64_e32 v4, v[4:5]
	s_mov_b64 s[0:1], 0
	v_cvt_u32_f64_e32 v3, v[2:3]
	global_store_dwordx2 v[0:1], v[3:4], off
.LBB9_2107:
	s_mov_b64 s[6:7], 0
.LBB9_2108:
	s_and_b64 vcc, exec, s[6:7]
	s_cbranch_vccz .LBB9_2123
; %bb.2109:
	s_cmp_lt_i32 s12, 27
	s_mov_b64 s[6:7], -1
	s_cbranch_scc1 .LBB9_2115
; %bb.2110:
	s_cmp_gt_i32 s12, 27
	s_cbranch_scc0 .LBB9_2112
; %bb.2111:
	v_cvt_u32_f64_e32 v2, v[12:13]
	s_mov_b64 s[6:7], 0
	global_store_dword v[0:1], v2, off
.LBB9_2112:
	s_andn2_b64 vcc, exec, s[6:7]
	s_cbranch_vccnz .LBB9_2114
; %bb.2113:
	v_cvt_u32_f64_e32 v2, v[12:13]
	global_store_short v[0:1], v2, off
.LBB9_2114:
	s_mov_b64 s[6:7], 0
.LBB9_2115:
	s_andn2_b64 vcc, exec, s[6:7]
	s_cbranch_vccnz .LBB9_2123
; %bb.2116:
	v_cvt_f32_f64_e32 v2, v[12:13]
	s_mov_b32 s6, 0x43800000
	v_mov_b32_e32 v4, 0x80
	v_and_b32_e32 v3, 0x7fffffff, v2
	v_cmp_gt_u32_e32 vcc, s6, v3
	s_and_saveexec_b64 s[6:7], vcc
	s_cbranch_execz .LBB9_2122
; %bb.2117:
	s_mov_b32 s8, 0x3bffffff
	v_cmp_lt_u32_e32 vcc, s8, v3
	s_mov_b64 s[8:9], 0
                                        ; implicit-def: $vgpr3
	s_and_saveexec_b64 s[10:11], vcc
	s_xor_b64 s[10:11], exec, s[10:11]
	s_cbranch_execz .LBB9_2184
; %bb.2118:
	v_bfe_u32 v3, v2, 20, 1
	s_mov_b32 s13, 0x487ffff
	v_add3_u32 v3, v2, v3, s13
	s_mov_b64 s[8:9], exec
	v_lshrrev_b32_e32 v3, 20, v3
	s_andn2_saveexec_b64 s[10:11], s[10:11]
	s_cbranch_execnz .LBB9_2185
.LBB9_2119:
	s_or_b64 exec, exec, s[10:11]
	v_mov_b32_e32 v4, 0
	s_and_saveexec_b64 s[10:11], s[8:9]
.LBB9_2120:
	v_lshrrev_b32_e32 v2, 24, v2
	s_movk_i32 s8, 0x80
	v_and_or_b32 v4, v2, s8, v3
.LBB9_2121:
	s_or_b64 exec, exec, s[10:11]
.LBB9_2122:
	s_or_b64 exec, exec, s[6:7]
	global_store_byte v[0:1], v4, off
.LBB9_2123:
	s_mov_b64 s[6:7], 0
.LBB9_2124:
	s_and_b64 vcc, exec, s[6:7]
	s_cbranch_vccz .LBB9_2164
; %bb.2125:
	s_cmp_gt_i32 s12, 22
	s_mov_b64 s[4:5], -1
	s_cbranch_scc0 .LBB9_2157
; %bb.2126:
	s_cmp_lt_i32 s12, 24
	s_cbranch_scc1 .LBB9_2146
; %bb.2127:
	s_cmp_gt_i32 s12, 24
	s_cbranch_scc0 .LBB9_2135
; %bb.2128:
	v_cvt_f32_f64_e32 v2, v[12:13]
	s_mov_b32 s4, 0x47800000
	v_mov_b32_e32 v4, 0x80
	v_and_b32_e32 v3, 0x7fffffff, v2
	v_cmp_gt_u32_e32 vcc, s4, v3
	s_and_saveexec_b64 s[4:5], vcc
	s_cbranch_execz .LBB9_2134
; %bb.2129:
	s_mov_b32 s6, 0x37ffffff
	v_cmp_lt_u32_e32 vcc, s6, v3
	s_mov_b64 s[6:7], 0
                                        ; implicit-def: $vgpr3
	s_and_saveexec_b64 s[8:9], vcc
	s_xor_b64 s[8:9], exec, s[8:9]
	s_cbranch_execz .LBB9_2187
; %bb.2130:
	v_bfe_u32 v3, v2, 21, 1
	s_mov_b32 s10, 0x88fffff
	v_add3_u32 v3, v2, v3, s10
	s_mov_b64 s[6:7], exec
	v_lshrrev_b32_e32 v3, 21, v3
	s_andn2_saveexec_b64 s[8:9], s[8:9]
	s_cbranch_execnz .LBB9_2188
.LBB9_2131:
	s_or_b64 exec, exec, s[8:9]
	v_mov_b32_e32 v4, 0
	s_and_saveexec_b64 s[8:9], s[6:7]
.LBB9_2132:
	v_lshrrev_b32_e32 v2, 24, v2
	s_movk_i32 s6, 0x80
	v_and_or_b32 v4, v2, s6, v3
.LBB9_2133:
	s_or_b64 exec, exec, s[8:9]
.LBB9_2134:
	s_or_b64 exec, exec, s[4:5]
	s_mov_b64 s[4:5], 0
	global_store_byte v[0:1], v4, off
.LBB9_2135:
	s_and_b64 vcc, exec, s[4:5]
	s_cbranch_vccz .LBB9_2145
; %bb.2136:
	v_cvt_f32_f64_e32 v2, v[12:13]
	s_mov_b32 s4, 0x43f00000
                                        ; implicit-def: $vgpr3
	v_and_b32_e32 v4, 0x7fffffff, v2
	v_cmp_gt_u32_e32 vcc, s4, v4
	s_and_saveexec_b64 s[4:5], vcc
	s_xor_b64 s[4:5], exec, s[4:5]
	s_cbranch_execz .LBB9_2142
; %bb.2137:
	s_mov_b32 s6, 0x3c7fffff
	v_cmp_lt_u32_e32 vcc, s6, v4
                                        ; implicit-def: $vgpr3
	s_and_saveexec_b64 s[6:7], vcc
	s_xor_b64 s[6:7], exec, s[6:7]
; %bb.2138:
	v_bfe_u32 v3, v2, 20, 1
	s_mov_b32 s8, 0x407ffff
	v_add3_u32 v3, v2, v3, s8
	v_lshrrev_b32_e32 v4, 20, v3
	v_and_b32_e32 v3, 0xff00000, v3
	s_mov_b32 s8, 0x7f00000
	v_mov_b32_e32 v5, 0x7e
	v_cmp_ne_u32_e32 vcc, s8, v3
	v_cndmask_b32_e32 v3, v5, v4, vcc
; %bb.2139:
	s_andn2_saveexec_b64 s[6:7], s[6:7]
; %bb.2140:
	s_mov_b32 s8, 0x46800000
	v_add_f32_e64 v3, |v2|, s8
; %bb.2141:
	s_or_b64 exec, exec, s[6:7]
                                        ; implicit-def: $vgpr4
.LBB9_2142:
	s_andn2_saveexec_b64 s[4:5], s[4:5]
; %bb.2143:
	s_mov_b32 s6, 0x7f800000
	v_mov_b32_e32 v3, 0x7e
	v_mov_b32_e32 v5, 0x7f
	v_cmp_lt_u32_e32 vcc, s6, v4
	v_cndmask_b32_e32 v3, v3, v5, vcc
; %bb.2144:
	s_or_b64 exec, exec, s[4:5]
	v_lshrrev_b32_e32 v2, 24, v2
	s_movk_i32 s4, 0x80
	v_and_or_b32 v2, v2, s4, v3
	global_store_byte v[0:1], v2, off
.LBB9_2145:
	s_mov_b64 s[4:5], 0
.LBB9_2146:
	s_andn2_b64 vcc, exec, s[4:5]
	s_cbranch_vccnz .LBB9_2156
; %bb.2147:
	v_cvt_f32_f64_e32 v2, v[12:13]
	s_mov_b32 s4, 0x47800000
                                        ; implicit-def: $vgpr3
	v_and_b32_e32 v4, 0x7fffffff, v2
	v_cmp_gt_u32_e32 vcc, s4, v4
	s_and_saveexec_b64 s[4:5], vcc
	s_xor_b64 s[4:5], exec, s[4:5]
	s_cbranch_execz .LBB9_2153
; %bb.2148:
	s_mov_b32 s6, 0x387fffff
	v_cmp_lt_u32_e32 vcc, s6, v4
                                        ; implicit-def: $vgpr3
	s_and_saveexec_b64 s[6:7], vcc
	s_xor_b64 s[6:7], exec, s[6:7]
; %bb.2149:
	v_bfe_u32 v3, v2, 21, 1
	s_mov_b32 s8, 0x80fffff
	v_add3_u32 v3, v2, v3, s8
	v_lshrrev_b32_e32 v3, 21, v3
; %bb.2150:
	s_andn2_saveexec_b64 s[6:7], s[6:7]
; %bb.2151:
	s_mov_b32 s8, 0x43000000
	v_add_f32_e64 v3, |v2|, s8
; %bb.2152:
	s_or_b64 exec, exec, s[6:7]
                                        ; implicit-def: $vgpr4
.LBB9_2153:
	s_andn2_saveexec_b64 s[4:5], s[4:5]
; %bb.2154:
	s_mov_b32 s6, 0x7f800000
	v_mov_b32_e32 v3, 0x7c
	v_mov_b32_e32 v5, 0x7f
	v_cmp_lt_u32_e32 vcc, s6, v4
	v_cndmask_b32_e32 v3, v3, v5, vcc
; %bb.2155:
	s_or_b64 exec, exec, s[4:5]
	v_lshrrev_b32_e32 v2, 24, v2
	s_movk_i32 s4, 0x80
	v_and_or_b32 v2, v2, s4, v3
	global_store_byte v[0:1], v2, off
.LBB9_2156:
	s_mov_b64 s[4:5], 0
.LBB9_2157:
	s_andn2_b64 vcc, exec, s[4:5]
	s_mov_b64 s[4:5], 0
	s_cbranch_vccnz .LBB9_2164
; %bb.2158:
	s_cmp_gt_i32 s12, 14
	s_mov_b64 s[6:7], -1
	s_cbranch_scc0 .LBB9_2162
; %bb.2159:
	s_cmp_eq_u32 s12, 15
	s_mov_b64 s[0:1], -1
	s_cbranch_scc0 .LBB9_2161
; %bb.2160:
	v_cvt_f32_f64_e32 v2, v[12:13]
	s_movk_i32 s0, 0x7fff
	v_mov_b32_e32 v3, 0x7fc0
	v_bfe_u32 v4, v2, 16, 1
	v_cmp_o_f32_e32 vcc, v2, v2
	v_add3_u32 v2, v2, v4, s0
	v_cndmask_b32_sdwa v2, v3, v2, vcc dst_sel:DWORD dst_unused:UNUSED_PAD src0_sel:DWORD src1_sel:WORD_1
	global_store_short v[0:1], v2, off
	s_mov_b64 s[0:1], 0
.LBB9_2161:
	s_mov_b64 s[6:7], 0
.LBB9_2162:
	s_and_b64 vcc, exec, s[6:7]
	s_cbranch_vccz .LBB9_2164
; %bb.2163:
	s_cmp_lg_u32 s12, 11
	s_mov_b64 s[4:5], -1
	s_cselect_b64 s[0:1], -1, 0
.LBB9_2164:
	s_and_b64 vcc, exec, s[0:1]
	s_cbranch_vccnz .LBB9_2186
.LBB9_2165:
	s_mov_b64 s[0:1], 0
	s_branch .LBB9_1767
.LBB9_2166:
	s_mov_b64 s[0:1], 0
                                        ; implicit-def: $vgpr0_vgpr1
                                        ; implicit-def: $sgpr14
	s_branch .LBB9_1766
.LBB9_2167:
	s_mov_b64 s[4:5], 0
	s_mov_b64 s[0:1], -1
	s_branch .LBB9_1767
.LBB9_2168:
	s_trap 2
	s_or_b64 s[2:3], s[2:3], exec
	s_cbranch_execz .LBB9_1631
	s_branch .LBB9_1632
.LBB9_2169:
	s_andn2_saveexec_b64 s[12:13], s[12:13]
	s_cbranch_execz .LBB9_1715
.LBB9_2170:
	s_mov_b32 s17, 0x46000000
	v_add_f32_e64 v3, |v2|, s17
	v_and_b32_e32 v3, 0xff, v3
	v_cmp_ne_u32_e32 vcc, 0, v3
	s_andn2_b64 s[10:11], s[10:11], exec
	s_and_b64 s[18:19], vcc, exec
	s_or_b64 s[10:11], s[10:11], s[18:19]
	s_or_b64 exec, exec, s[12:13]
	v_mov_b32_e32 v7, 0
	s_and_saveexec_b64 s[12:13], s[10:11]
	s_cbranch_execnz .LBB9_1716
	s_branch .LBB9_1717
.LBB9_2171:
	s_trap 2
	s_or_b64 s[2:3], s[2:3], exec
	s_cbranch_execz .LBB9_1763
	s_branch .LBB9_1764
.LBB9_2172:
	s_andn2_saveexec_b64 s[10:11], s[10:11]
	s_cbranch_execz .LBB9_1728
.LBB9_2173:
	s_mov_b32 s12, 0x42800000
	v_add_f32_e64 v3, |v2|, s12
	v_and_b32_e32 v3, 0xff, v3
	v_cmp_ne_u32_e32 vcc, 0, v3
	s_andn2_b64 s[6:7], s[6:7], exec
	s_and_b64 s[12:13], vcc, exec
	s_or_b64 s[6:7], s[6:7], s[12:13]
	s_or_b64 exec, exec, s[10:11]
	v_mov_b32_e32 v7, 0
	s_and_saveexec_b64 s[10:11], s[6:7]
	s_cbranch_execnz .LBB9_1729
	s_branch .LBB9_1730
.LBB9_2174:
	s_andn2_saveexec_b64 s[12:13], s[12:13]
	s_cbranch_execz .LBB9_1880
.LBB9_2175:
	s_mov_b32 s16, 0x46000000
	v_add_f32_e64 v3, |v2|, s16
	v_and_b32_e32 v3, 0xff, v3
	v_cmp_ne_u32_e32 vcc, 0, v3
	s_andn2_b64 s[10:11], s[10:11], exec
	s_and_b64 s[16:17], vcc, exec
	s_or_b64 s[10:11], s[10:11], s[16:17]
	s_or_b64 exec, exec, s[12:13]
	v_mov_b32_e32 v6, 0
	s_and_saveexec_b64 s[12:13], s[10:11]
	s_cbranch_execnz .LBB9_1881
	s_branch .LBB9_1882
.LBB9_2176:
	s_trap 2
	s_or_b64 s[2:3], s[2:3], exec
	s_cbranch_execz .LBB9_1928
	s_branch .LBB9_1929
.LBB9_2177:
	s_andn2_saveexec_b64 s[10:11], s[10:11]
	s_cbranch_execz .LBB9_1893
.LBB9_2178:
	s_mov_b32 s12, 0x42800000
	v_add_f32_e64 v3, |v2|, s12
	v_and_b32_e32 v3, 0xff, v3
	v_cmp_ne_u32_e32 vcc, 0, v3
	s_andn2_b64 s[6:7], s[6:7], exec
	s_and_b64 s[12:13], vcc, exec
	s_or_b64 s[6:7], s[6:7], s[12:13]
	s_or_b64 exec, exec, s[10:11]
	v_mov_b32_e32 v6, 0
	s_and_saveexec_b64 s[10:11], s[6:7]
	s_cbranch_execnz .LBB9_1894
	s_branch .LBB9_1895
.LBB9_2179:
	s_andn2_saveexec_b64 s[12:13], s[12:13]
	s_cbranch_execz .LBB9_1999
.LBB9_2180:
	s_mov_b32 s16, 0x46000000
	v_add_f32_e64 v3, |v2|, s16
	v_and_b32_e32 v3, 0xff, v3
	v_cmp_ne_u32_e32 vcc, 0, v3
	s_andn2_b64 s[10:11], s[10:11], exec
	s_and_b64 s[16:17], vcc, exec
	s_or_b64 s[10:11], s[10:11], s[16:17]
	s_or_b64 exec, exec, s[12:13]
	v_mov_b32_e32 v4, 0
	s_and_saveexec_b64 s[12:13], s[10:11]
	s_cbranch_execnz .LBB9_2000
	s_branch .LBB9_2001
.LBB9_2181:
	s_trap 2
	s_or_b64 s[2:3], s[2:3], exec
	s_cbranch_execz .LBB9_2047
	s_branch .LBB9_2048
.LBB9_2182:
	s_andn2_saveexec_b64 s[10:11], s[10:11]
	s_cbranch_execz .LBB9_2012
.LBB9_2183:
	s_mov_b32 s12, 0x42800000
	v_add_f32_e64 v3, |v2|, s12
	v_and_b32_e32 v3, 0xff, v3
	v_cmp_ne_u32_e32 vcc, 0, v3
	s_andn2_b64 s[6:7], s[6:7], exec
	s_and_b64 s[12:13], vcc, exec
	s_or_b64 s[6:7], s[6:7], s[12:13]
	s_or_b64 exec, exec, s[10:11]
	v_mov_b32_e32 v4, 0
	s_and_saveexec_b64 s[10:11], s[6:7]
	s_cbranch_execnz .LBB9_2013
	s_branch .LBB9_2014
.LBB9_2184:
	s_andn2_saveexec_b64 s[10:11], s[10:11]
	s_cbranch_execz .LBB9_2119
.LBB9_2185:
	s_mov_b32 s13, 0x46000000
	v_add_f32_e64 v3, |v2|, s13
	v_and_b32_e32 v3, 0xff, v3
	v_cmp_ne_u32_e32 vcc, 0, v3
	s_andn2_b64 s[8:9], s[8:9], exec
	s_and_b64 s[16:17], vcc, exec
	s_or_b64 s[8:9], s[8:9], s[16:17]
	s_or_b64 exec, exec, s[10:11]
	v_mov_b32_e32 v4, 0
	s_and_saveexec_b64 s[10:11], s[8:9]
	s_cbranch_execnz .LBB9_2120
	s_branch .LBB9_2121
.LBB9_2186:
	s_mov_b64 s[4:5], 0
	s_or_b64 s[2:3], s[2:3], exec
	s_trap 2
	s_branch .LBB9_2165
.LBB9_2187:
	s_andn2_saveexec_b64 s[8:9], s[8:9]
	s_cbranch_execz .LBB9_2131
.LBB9_2188:
	s_mov_b32 s10, 0x42800000
	v_add_f32_e64 v3, |v2|, s10
	v_and_b32_e32 v3, 0xff, v3
	v_cmp_ne_u32_e32 vcc, 0, v3
	s_andn2_b64 s[6:7], s[6:7], exec
	s_and_b64 s[10:11], vcc, exec
	s_or_b64 s[6:7], s[6:7], s[10:11]
	s_or_b64 exec, exec, s[8:9]
	v_mov_b32_e32 v4, 0
	s_and_saveexec_b64 s[8:9], s[6:7]
	s_cbranch_execnz .LBB9_2132
	s_branch .LBB9_2133
	.section	.rodata,"a",@progbits
	.p2align	6, 0x0
	.amdhsa_kernel _ZN2at6native32elementwise_kernel_manual_unrollILi128ELi4EZNS0_15gpu_kernel_implIZZZNS0_12_GLOBAL__N_130modified_bessel_i0_kernel_cudaERNS_18TensorIteratorBaseEENKUlvE_clEvENKUlvE_clEvEUldE_EEvS5_RKT_EUlibE0_EEviT1_
		.amdhsa_group_segment_fixed_size 0
		.amdhsa_private_segment_fixed_size 0
		.amdhsa_kernarg_size 360
		.amdhsa_user_sgpr_count 6
		.amdhsa_user_sgpr_private_segment_buffer 1
		.amdhsa_user_sgpr_dispatch_ptr 0
		.amdhsa_user_sgpr_queue_ptr 0
		.amdhsa_user_sgpr_kernarg_segment_ptr 1
		.amdhsa_user_sgpr_dispatch_id 0
		.amdhsa_user_sgpr_flat_scratch_init 0
		.amdhsa_user_sgpr_private_segment_size 0
		.amdhsa_uses_dynamic_stack 0
		.amdhsa_system_sgpr_private_segment_wavefront_offset 0
		.amdhsa_system_sgpr_workgroup_id_x 1
		.amdhsa_system_sgpr_workgroup_id_y 0
		.amdhsa_system_sgpr_workgroup_id_z 0
		.amdhsa_system_sgpr_workgroup_info 0
		.amdhsa_system_vgpr_workitem_id 0
		.amdhsa_next_free_vgpr 35
		.amdhsa_next_free_sgpr 78
		.amdhsa_reserve_vcc 1
		.amdhsa_reserve_flat_scratch 0
		.amdhsa_float_round_mode_32 0
		.amdhsa_float_round_mode_16_64 0
		.amdhsa_float_denorm_mode_32 3
		.amdhsa_float_denorm_mode_16_64 3
		.amdhsa_dx10_clamp 1
		.amdhsa_ieee_mode 1
		.amdhsa_fp16_overflow 0
		.amdhsa_exception_fp_ieee_invalid_op 0
		.amdhsa_exception_fp_denorm_src 0
		.amdhsa_exception_fp_ieee_div_zero 0
		.amdhsa_exception_fp_ieee_overflow 0
		.amdhsa_exception_fp_ieee_underflow 0
		.amdhsa_exception_fp_ieee_inexact 0
		.amdhsa_exception_int_div_zero 0
	.end_amdhsa_kernel
	.section	.text._ZN2at6native32elementwise_kernel_manual_unrollILi128ELi4EZNS0_15gpu_kernel_implIZZZNS0_12_GLOBAL__N_130modified_bessel_i0_kernel_cudaERNS_18TensorIteratorBaseEENKUlvE_clEvENKUlvE_clEvEUldE_EEvS5_RKT_EUlibE0_EEviT1_,"axG",@progbits,_ZN2at6native32elementwise_kernel_manual_unrollILi128ELi4EZNS0_15gpu_kernel_implIZZZNS0_12_GLOBAL__N_130modified_bessel_i0_kernel_cudaERNS_18TensorIteratorBaseEENKUlvE_clEvENKUlvE_clEvEUldE_EEvS5_RKT_EUlibE0_EEviT1_,comdat
.Lfunc_end9:
	.size	_ZN2at6native32elementwise_kernel_manual_unrollILi128ELi4EZNS0_15gpu_kernel_implIZZZNS0_12_GLOBAL__N_130modified_bessel_i0_kernel_cudaERNS_18TensorIteratorBaseEENKUlvE_clEvENKUlvE_clEvEUldE_EEvS5_RKT_EUlibE0_EEviT1_, .Lfunc_end9-_ZN2at6native32elementwise_kernel_manual_unrollILi128ELi4EZNS0_15gpu_kernel_implIZZZNS0_12_GLOBAL__N_130modified_bessel_i0_kernel_cudaERNS_18TensorIteratorBaseEENKUlvE_clEvENKUlvE_clEvEUldE_EEvS5_RKT_EUlibE0_EEviT1_
                                        ; -- End function
	.set _ZN2at6native32elementwise_kernel_manual_unrollILi128ELi4EZNS0_15gpu_kernel_implIZZZNS0_12_GLOBAL__N_130modified_bessel_i0_kernel_cudaERNS_18TensorIteratorBaseEENKUlvE_clEvENKUlvE_clEvEUldE_EEvS5_RKT_EUlibE0_EEviT1_.num_vgpr, 35
	.set _ZN2at6native32elementwise_kernel_manual_unrollILi128ELi4EZNS0_15gpu_kernel_implIZZZNS0_12_GLOBAL__N_130modified_bessel_i0_kernel_cudaERNS_18TensorIteratorBaseEENKUlvE_clEvENKUlvE_clEvEUldE_EEvS5_RKT_EUlibE0_EEviT1_.num_agpr, 0
	.set _ZN2at6native32elementwise_kernel_manual_unrollILi128ELi4EZNS0_15gpu_kernel_implIZZZNS0_12_GLOBAL__N_130modified_bessel_i0_kernel_cudaERNS_18TensorIteratorBaseEENKUlvE_clEvENKUlvE_clEvEUldE_EEvS5_RKT_EUlibE0_EEviT1_.numbered_sgpr, 78
	.set _ZN2at6native32elementwise_kernel_manual_unrollILi128ELi4EZNS0_15gpu_kernel_implIZZZNS0_12_GLOBAL__N_130modified_bessel_i0_kernel_cudaERNS_18TensorIteratorBaseEENKUlvE_clEvENKUlvE_clEvEUldE_EEvS5_RKT_EUlibE0_EEviT1_.num_named_barrier, 0
	.set _ZN2at6native32elementwise_kernel_manual_unrollILi128ELi4EZNS0_15gpu_kernel_implIZZZNS0_12_GLOBAL__N_130modified_bessel_i0_kernel_cudaERNS_18TensorIteratorBaseEENKUlvE_clEvENKUlvE_clEvEUldE_EEvS5_RKT_EUlibE0_EEviT1_.private_seg_size, 0
	.set _ZN2at6native32elementwise_kernel_manual_unrollILi128ELi4EZNS0_15gpu_kernel_implIZZZNS0_12_GLOBAL__N_130modified_bessel_i0_kernel_cudaERNS_18TensorIteratorBaseEENKUlvE_clEvENKUlvE_clEvEUldE_EEvS5_RKT_EUlibE0_EEviT1_.uses_vcc, 1
	.set _ZN2at6native32elementwise_kernel_manual_unrollILi128ELi4EZNS0_15gpu_kernel_implIZZZNS0_12_GLOBAL__N_130modified_bessel_i0_kernel_cudaERNS_18TensorIteratorBaseEENKUlvE_clEvENKUlvE_clEvEUldE_EEvS5_RKT_EUlibE0_EEviT1_.uses_flat_scratch, 0
	.set _ZN2at6native32elementwise_kernel_manual_unrollILi128ELi4EZNS0_15gpu_kernel_implIZZZNS0_12_GLOBAL__N_130modified_bessel_i0_kernel_cudaERNS_18TensorIteratorBaseEENKUlvE_clEvENKUlvE_clEvEUldE_EEvS5_RKT_EUlibE0_EEviT1_.has_dyn_sized_stack, 0
	.set _ZN2at6native32elementwise_kernel_manual_unrollILi128ELi4EZNS0_15gpu_kernel_implIZZZNS0_12_GLOBAL__N_130modified_bessel_i0_kernel_cudaERNS_18TensorIteratorBaseEENKUlvE_clEvENKUlvE_clEvEUldE_EEvS5_RKT_EUlibE0_EEviT1_.has_recursion, 0
	.set _ZN2at6native32elementwise_kernel_manual_unrollILi128ELi4EZNS0_15gpu_kernel_implIZZZNS0_12_GLOBAL__N_130modified_bessel_i0_kernel_cudaERNS_18TensorIteratorBaseEENKUlvE_clEvENKUlvE_clEvEUldE_EEvS5_RKT_EUlibE0_EEviT1_.has_indirect_call, 0
	.section	.AMDGPU.csdata,"",@progbits
; Kernel info:
; codeLenInByte = 63872
; TotalNumSgprs: 82
; NumVgprs: 35
; ScratchSize: 0
; MemoryBound: 1
; FloatMode: 240
; IeeeMode: 1
; LDSByteSize: 0 bytes/workgroup (compile time only)
; SGPRBlocks: 10
; VGPRBlocks: 8
; NumSGPRsForWavesPerEU: 82
; NumVGPRsForWavesPerEU: 35
; Occupancy: 7
; WaveLimiterHint : 1
; COMPUTE_PGM_RSRC2:SCRATCH_EN: 0
; COMPUTE_PGM_RSRC2:USER_SGPR: 6
; COMPUTE_PGM_RSRC2:TRAP_HANDLER: 0
; COMPUTE_PGM_RSRC2:TGID_X_EN: 1
; COMPUTE_PGM_RSRC2:TGID_Y_EN: 0
; COMPUTE_PGM_RSRC2:TGID_Z_EN: 0
; COMPUTE_PGM_RSRC2:TIDIG_COMP_CNT: 0
	.text
	.p2align	2                               ; -- Begin function _ZN2at6native25elementwise_kernel_helperILb0EZZZNS0_12_GLOBAL__N_130modified_bessel_i0_kernel_cudaERNS_18TensorIteratorBaseEENKUlvE_clEvENKUlvE0_clEvEUlfE_NS0_6memory8policies11unroll_baseILi256ESt5arrayIPcLm2EE23TrivialOffsetCalculatorILi1EjESF_NS8_15LoadWithoutCastENS8_16StoreWithoutCastELi4ELi1EEEEEvT0_T1_
	.type	_ZN2at6native25elementwise_kernel_helperILb0EZZZNS0_12_GLOBAL__N_130modified_bessel_i0_kernel_cudaERNS_18TensorIteratorBaseEENKUlvE_clEvENKUlvE0_clEvEUlfE_NS0_6memory8policies11unroll_baseILi256ESt5arrayIPcLm2EE23TrivialOffsetCalculatorILi1EjESF_NS8_15LoadWithoutCastENS8_16StoreWithoutCastELi4ELi1EEEEEvT0_T1_,@function
_ZN2at6native25elementwise_kernel_helperILb0EZZZNS0_12_GLOBAL__N_130modified_bessel_i0_kernel_cudaERNS_18TensorIteratorBaseEENKUlvE_clEvENKUlvE0_clEvEUlfE_NS0_6memory8policies11unroll_baseILi256ESt5arrayIPcLm2EE23TrivialOffsetCalculatorILi1EjESF_NS8_15LoadWithoutCastENS8_16StoreWithoutCastELi4ELi1EEEEEvT0_T1_: ; @_ZN2at6native25elementwise_kernel_helperILb0EZZZNS0_12_GLOBAL__N_130modified_bessel_i0_kernel_cudaERNS_18TensorIteratorBaseEENKUlvE_clEvENKUlvE0_clEvEUlfE_NS0_6memory8policies11unroll_baseILi256ESt5arrayIPcLm2EE23TrivialOffsetCalculatorILi1EjESF_NS8_15LoadWithoutCastENS8_16StoreWithoutCastELi4ELi1EEEEEvT0_T1_
; %bb.0:
	s_waitcnt vmcnt(0) expcnt(0) lgkmcnt(0)
	v_and_b32_e32 v7, 0x3ff, v31
	s_lshl_b32 s12, s12, 10
	v_cmp_lt_i32_e64 s[4:5], v7, v4
	v_mov_b32_e32 v12, 0
	v_or_b32_e32 v5, s12, v7
	v_mov_b32_e32 v13, 0
	v_mov_b32_e32 v9, v7
	s_and_saveexec_b64 s[6:7], s[4:5]
	s_cbranch_execz .LBB10_2
; %bb.1:
	v_mov_b32_e32 v6, 0
	v_lshlrev_b64 v[8:9], 2, v[5:6]
	v_add_co_u32_e32 v8, vcc, v2, v8
	v_addc_co_u32_e32 v9, vcc, v3, v9, vcc
	flat_load_dword v6, v[8:9]
	v_add_u32_e32 v9, 0x100, v7
	s_waitcnt vmcnt(0) lgkmcnt(0)
	v_and_b32_e32 v13, 0x7fffffff, v6
.LBB10_2:
	s_or_b64 exec, exec, s[6:7]
	v_cmp_lt_i32_e32 vcc, v9, v4
	s_and_saveexec_b64 s[6:7], vcc
	s_cbranch_execz .LBB10_4
; %bb.3:
	v_add_u32_e32 v10, s12, v9
	v_mov_b32_e32 v11, 0
	v_lshlrev_b64 v[10:11], 2, v[10:11]
	v_add_u32_e32 v9, 0x100, v9
	v_add_co_u32_e32 v10, vcc, v2, v10
	v_addc_co_u32_e32 v11, vcc, v3, v11, vcc
	flat_load_dword v6, v[10:11]
	s_waitcnt vmcnt(0) lgkmcnt(0)
	v_and_b32_e32 v12, 0x7fffffff, v6
.LBB10_4:
	s_or_b64 exec, exec, s[6:7]
	v_cmp_lt_i32_e32 vcc, v9, v4
	v_mov_b32_e32 v6, 0
	v_mov_b32_e32 v8, 0
	s_and_saveexec_b64 s[6:7], vcc
	s_cbranch_execz .LBB10_6
; %bb.5:
	v_add_u32_e32 v10, s12, v9
	v_mov_b32_e32 v11, 0
	v_lshlrev_b64 v[10:11], 2, v[10:11]
	v_add_u32_e32 v9, 0x100, v9
	v_add_co_u32_e32 v10, vcc, v2, v10
	v_addc_co_u32_e32 v11, vcc, v3, v11, vcc
	flat_load_dword v8, v[10:11]
	s_waitcnt vmcnt(0) lgkmcnt(0)
	v_and_b32_e32 v8, 0x7fffffff, v8
.LBB10_6:
	s_or_b64 exec, exec, s[6:7]
	v_cmp_lt_i32_e32 vcc, v9, v4
	s_and_saveexec_b64 s[6:7], vcc
	s_cbranch_execz .LBB10_8
; %bb.7:
	v_add_u32_e32 v9, s12, v9
	v_mov_b32_e32 v10, 0
	v_lshlrev_b64 v[9:10], 2, v[9:10]
	v_add_co_u32_e32 v2, vcc, v2, v9
	v_addc_co_u32_e32 v3, vcc, v3, v10, vcc
	flat_load_dword v2, v[2:3]
	s_waitcnt vmcnt(0) lgkmcnt(0)
	v_and_b32_e32 v6, 0x7fffffff, v2
.LBB10_8:
	s_or_b64 exec, exec, s[6:7]
	v_mov_b32_e32 v2, 0
	v_mov_b32_e32 v11, v2
	;; [unrolled: 1-line block ×4, first 2 shown]
	s_and_saveexec_b64 s[8:9], s[4:5]
	s_cbranch_execz .LBB10_14
; %bb.9:
	s_mov_b32 s6, 0x41000000
	v_cmp_ge_f32_e32 vcc, s6, v13
                                        ; implicit-def: $vgpr2
	s_and_saveexec_b64 s[6:7], vcc
	s_xor_b64 s[6:7], exec, s[6:7]
	s_cbranch_execz .LBB10_11
; %bb.10:
	v_fma_f32 v2, v13, 0.5, -2.0
	v_mov_b32_e32 v3, 0x24199b15
	v_fmac_f32_e32 v3, 0xa2a2e5b9, v2
	v_mov_b32_e32 v9, 0x22a2e5b9
	v_fmac_f32_e32 v9, v2, v3
	v_add_f32_e32 v9, 0xa58c275c, v9
	v_fma_f32 v3, v2, v9, -v3
	v_add_f32_e32 v3, 0x26f736c5, v3
	v_fma_f32 v9, v2, v3, -v9
	;; [unrolled: 2-line block ×23, first 2 shown]
	v_mul_f32_e32 v10, 0x3fb8aa3b, v13
	v_add_f32_e32 v3, 0x3d49f456, v3
	s_mov_b32 s10, 0x3fb8aa3b
	v_rndne_f32_e32 v11, v10
	v_fma_f32 v9, v2, v3, -v9
	v_sub_f32_e32 v14, v10, v11
	v_fma_f32 v10, v13, s10, -v10
	v_add_f32_e32 v9, 0xbdc25b82, v9
	v_fmac_f32_e32 v10, 0x32a5705f, v13
	v_fma_f32 v3, v2, v9, -v3
	v_add_f32_e32 v10, v14, v10
	v_add_f32_e32 v3, 0x3e2fbd64, v3
	v_exp_f32_e32 v10, v10
	v_cvt_i32_f32_e32 v11, v11
	v_fma_f32 v9, v2, v3, -v9
	v_add_f32_e32 v9, 0xbe9bff5e, v9
	v_fma_f32 v2, v2, v9, -v3
	s_mov_b32 s10, 0xc2ce8ed0
	v_add_f32_e32 v2, 0x3f2d4275, v2
	v_ldexp_f32 v9, v10, v11
	v_cmp_ngt_f32_e32 vcc, s10, v13
	s_mov_b32 s10, 0x42b17218
	v_cndmask_b32_e32 v9, 0, v9, vcc
	v_mov_b32_e32 v10, 0x7f800000
	v_cmp_nlt_f32_e32 vcc, s10, v13
	v_sub_f32_e32 v2, v2, v3
	v_cndmask_b32_e32 v9, v10, v9, vcc
	v_mul_f32_e32 v2, 0.5, v2
	v_mul_f32_e32 v2, v9, v2
                                        ; implicit-def: $vgpr13
.LBB10_11:
	s_andn2_saveexec_b64 s[10:11], s[6:7]
	s_cbranch_execz .LBB10_13
; %bb.12:
	s_mov_b32 s13, 0x42000000
	v_div_scale_f32 v2, s[6:7], v13, v13, s13
	v_div_scale_f32 v10, vcc, s13, v13, s13
	v_mov_b32_e32 v3, 0xa2b236d3
	v_mov_b32_e32 v9, 0x23056dbb
	s_mov_b32 s6, 0x3fb8aa3b
	v_mul_f32_e32 v11, 0x3fb8aa3b, v13
	s_mov_b32 s7, 0xf800000
	v_mul_f32_e32 v15, 0x4f800000, v13
	v_fma_f32 v17, v13, s6, -v11
	v_cmp_gt_f32_e64 s[6:7], s7, v13
	v_cndmask_b32_e64 v15, v13, v15, s[6:7]
	v_rndne_f32_e32 v16, v11
	v_sub_f32_e32 v11, v11, v16
	v_fmac_f32_e32 v17, 0x32a5705f, v13
	v_rcp_f32_e32 v18, v2
	v_add_f32_e32 v11, v11, v17
	v_cvt_i32_f32_e32 v16, v16
	v_exp_f32_e32 v11, v11
	v_fma_f32 v19, -v2, v18, 1.0
	v_fmac_f32_e32 v18, v19, v18
	v_mul_f32_e32 v19, v10, v18
	v_fma_f32 v20, -v2, v19, v10
	v_fmac_f32_e32 v19, v20, v18
	v_fma_f32 v2, -v2, v19, v10
	v_div_fmas_f32 v2, v2, v18, v19
	v_sqrt_f32_e32 v10, v15
	s_mov_b32 s14, 0xc2ce8ed0
	s_mov_b32 s15, 0x42b17218
	v_ldexp_f32 v11, v11, v16
	v_add_u32_e32 v17, -1, v10
	v_fma_f32 v19, -v17, v10, v15
	v_cmp_ge_f32_e32 vcc, 0, v19
	v_add_u32_e32 v18, 1, v10
	v_cndmask_b32_e32 v16, v10, v17, vcc
	v_cmp_ngt_f32_e32 vcc, s14, v13
	v_mov_b32_e32 v14, 0x7f800000
	v_cndmask_b32_e32 v11, 0, v11, vcc
	v_cmp_nlt_f32_e32 vcc, s15, v13
	v_cndmask_b32_e32 v11, v14, v11, vcc
	v_div_fixup_f32 v2, v2, v13, s13
	v_add_f32_e32 v2, -2.0, v2
	v_fmac_f32_e32 v3, 0xa3056dbb, v2
	v_fmac_f32_e32 v9, v2, v3
	v_add_f32_e32 v9, 0x244df0c1, v9
	v_fma_f32 v3, v2, v9, -v3
	v_add_f32_e32 v3, 0x241f9ee8, v3
	v_fma_f32 v9, v2, v3, -v9
	;; [unrolled: 2-line block ×22, first 2 shown]
	v_fma_f32 v3, -v18, v10, v15
	v_cmp_lt_f32_e32 vcc, 0, v3
	v_add_f32_e32 v2, 0x3f4df315, v2
	v_cndmask_b32_e32 v3, v16, v18, vcc
	v_sub_f32_e32 v2, v2, v9
	v_mul_f32_e32 v9, 0x37800000, v3
	v_cndmask_b32_e64 v3, v3, v9, s[6:7]
	v_mov_b32_e32 v9, 0x260
	v_mul_f32_e32 v2, 0.5, v2
	v_cmp_class_f32_e32 vcc, v15, v9
	v_mul_f32_e32 v2, v11, v2
	v_cndmask_b32_e32 v3, v3, v15, vcc
	v_div_scale_f32 v9, s[6:7], v3, v3, v2
	v_div_scale_f32 v10, vcc, v2, v3, v2
	v_rcp_f32_e32 v11, v9
	v_fma_f32 v13, -v9, v11, 1.0
	v_fmac_f32_e32 v11, v13, v11
	v_mul_f32_e32 v13, v10, v11
	v_fma_f32 v14, -v9, v13, v10
	v_fmac_f32_e32 v13, v14, v11
	v_fma_f32 v9, -v9, v13, v10
	v_div_fmas_f32 v9, v9, v11, v13
	v_div_fixup_f32 v2, v9, v3, v2
.LBB10_13:
	s_or_b64 exec, exec, s[10:11]
	v_mov_b32_e32 v11, 0
	v_mov_b32_e32 v10, v11
	;; [unrolled: 1-line block ×3, first 2 shown]
.LBB10_14:
	s_or_b64 exec, exec, s[8:9]
	v_add_u32_e32 v3, 0x100, v7
	v_cmp_lt_i32_e32 vcc, v3, v4
	s_and_saveexec_b64 s[8:9], vcc
	s_cbranch_execz .LBB10_20
; %bb.15:
	s_mov_b32 s6, 0x41000000
	v_cmp_ge_f32_e32 vcc, s6, v12
	s_and_saveexec_b64 s[6:7], vcc
	s_xor_b64 s[6:7], exec, s[6:7]
                                        ; implicit-def: $vgpr11
	s_cbranch_execz .LBB10_17
; %bb.16:
	v_fma_f32 v11, v12, 0.5, -2.0
	v_mov_b32_e32 v13, 0x24199b15
	v_fmac_f32_e32 v13, 0xa2a2e5b9, v11
	v_mov_b32_e32 v14, 0x22a2e5b9
	v_fmac_f32_e32 v14, v11, v13
	v_add_f32_e32 v14, 0xa58c275c, v14
	v_fma_f32 v13, v11, v14, -v13
	v_add_f32_e32 v13, 0x26f736c5, v13
	v_fma_f32 v14, v11, v13, -v14
	;; [unrolled: 2-line block ×23, first 2 shown]
	v_mul_f32_e32 v15, 0x3fb8aa3b, v12
	v_add_f32_e32 v13, 0x3d49f456, v13
	s_mov_b32 s10, 0x3fb8aa3b
	v_rndne_f32_e32 v16, v15
	v_fma_f32 v14, v11, v13, -v14
	v_sub_f32_e32 v17, v15, v16
	v_fma_f32 v15, v12, s10, -v15
	v_add_f32_e32 v14, 0xbdc25b82, v14
	v_fmac_f32_e32 v15, 0x32a5705f, v12
	v_fma_f32 v13, v11, v14, -v13
	v_add_f32_e32 v15, v17, v15
	v_add_f32_e32 v13, 0x3e2fbd64, v13
	v_exp_f32_e32 v15, v15
	v_cvt_i32_f32_e32 v16, v16
	v_fma_f32 v14, v11, v13, -v14
	v_add_f32_e32 v14, 0xbe9bff5e, v14
	v_fma_f32 v11, v11, v14, -v13
	s_mov_b32 s10, 0xc2ce8ed0
	v_add_f32_e32 v11, 0x3f2d4275, v11
	v_ldexp_f32 v14, v15, v16
	v_cmp_ngt_f32_e32 vcc, s10, v12
	s_mov_b32 s10, 0x42b17218
	v_cndmask_b32_e32 v14, 0, v14, vcc
	v_mov_b32_e32 v15, 0x7f800000
	v_cmp_nlt_f32_e32 vcc, s10, v12
	v_sub_f32_e32 v11, v11, v13
	v_cndmask_b32_e32 v12, v15, v14, vcc
	v_mul_f32_e32 v11, 0.5, v11
	v_mul_f32_e32 v11, v12, v11
                                        ; implicit-def: $vgpr12
.LBB10_17:
	s_andn2_saveexec_b64 s[10:11], s[6:7]
	s_cbranch_execz .LBB10_19
; %bb.18:
	s_mov_b32 s13, 0x42000000
	v_div_scale_f32 v11, s[6:7], v12, v12, s13
	v_div_scale_f32 v15, vcc, s13, v12, s13
	s_mov_b32 s6, 0x3fb8aa3b
	v_mul_f32_e32 v16, 0x3fb8aa3b, v12
	s_mov_b32 s7, 0xf800000
	v_mul_f32_e32 v18, 0x4f800000, v12
	v_fma_f32 v20, v12, s6, -v16
	v_cmp_gt_f32_e64 s[6:7], s7, v12
	v_cndmask_b32_e64 v18, v12, v18, s[6:7]
	v_rndne_f32_e32 v19, v16
	v_sub_f32_e32 v16, v16, v19
	v_fmac_f32_e32 v20, 0x32a5705f, v12
	v_add_f32_e32 v16, v16, v20
	v_cvt_i32_f32_e32 v19, v19
	v_rcp_f32_e32 v21, v11
	v_exp_f32_e32 v16, v16
	v_mov_b32_e32 v13, 0xa2b236d3
	v_mov_b32_e32 v14, 0x23056dbb
	v_fma_f32 v22, -v11, v21, 1.0
	v_fmac_f32_e32 v21, v22, v21
	v_mul_f32_e32 v22, v15, v21
	v_fma_f32 v23, -v11, v22, v15
	v_fmac_f32_e32 v22, v23, v21
	v_fma_f32 v11, -v11, v22, v15
	v_div_fmas_f32 v11, v11, v21, v22
	v_sqrt_f32_e32 v15, v18
	s_mov_b32 s14, 0xc2ce8ed0
	s_mov_b32 s15, 0x42b17218
	v_ldexp_f32 v16, v16, v19
	v_add_u32_e32 v20, -1, v15
	v_fma_f32 v22, -v20, v15, v18
	v_cmp_ge_f32_e32 vcc, 0, v22
	v_cndmask_b32_e32 v19, v15, v20, vcc
	v_cmp_ngt_f32_e32 vcc, s14, v12
	v_cndmask_b32_e32 v16, 0, v16, vcc
	v_cmp_nlt_f32_e32 vcc, s15, v12
	v_add_u32_e32 v21, 1, v15
	v_mov_b32_e32 v17, 0x7f800000
	v_cndmask_b32_e32 v16, v17, v16, vcc
	v_div_fixup_f32 v11, v11, v12, s13
	v_add_f32_e32 v11, -2.0, v11
	v_fmac_f32_e32 v13, 0xa3056dbb, v11
	v_fmac_f32_e32 v14, v11, v13
	v_add_f32_e32 v12, 0x244df0c1, v14
	v_fma_f32 v13, v11, v12, -v13
	v_add_f32_e32 v13, 0x241f9ee8, v13
	v_fma_f32 v12, v11, v13, -v12
	;; [unrolled: 2-line block ×22, first 2 shown]
	v_add_f32_e32 v11, 0x3f4df315, v11
	v_sub_f32_e32 v11, v11, v12
	v_fma_f32 v12, -v21, v15, v18
	v_cmp_lt_f32_e32 vcc, 0, v12
	v_cndmask_b32_e32 v12, v19, v21, vcc
	v_mul_f32_e32 v13, 0x37800000, v12
	v_cndmask_b32_e64 v12, v12, v13, s[6:7]
	v_mov_b32_e32 v13, 0x260
	v_mul_f32_e32 v11, 0.5, v11
	v_cmp_class_f32_e32 vcc, v18, v13
	v_mul_f32_e32 v11, v16, v11
	v_cndmask_b32_e32 v12, v12, v18, vcc
	v_div_scale_f32 v13, s[6:7], v12, v12, v11
	v_div_scale_f32 v14, vcc, v11, v12, v11
	v_rcp_f32_e32 v15, v13
	v_fma_f32 v16, -v13, v15, 1.0
	v_fmac_f32_e32 v15, v16, v15
	v_mul_f32_e32 v16, v14, v15
	v_fma_f32 v17, -v13, v16, v14
	v_fmac_f32_e32 v16, v17, v15
	v_fma_f32 v13, -v13, v16, v14
	v_div_fmas_f32 v13, v13, v15, v16
	v_div_fixup_f32 v11, v13, v12, v11
.LBB10_19:
	s_or_b64 exec, exec, s[10:11]
.LBB10_20:
	s_or_b64 exec, exec, s[8:9]
	v_add_u32_e32 v12, 0x200, v7
	v_cmp_lt_i32_e32 vcc, v12, v4
	s_and_saveexec_b64 s[8:9], vcc
	s_cbranch_execz .LBB10_26
; %bb.21:
	s_mov_b32 s6, 0x41000000
	v_cmp_ge_f32_e32 vcc, s6, v8
	s_and_saveexec_b64 s[6:7], vcc
	s_xor_b64 s[6:7], exec, s[6:7]
                                        ; implicit-def: $vgpr10
	s_cbranch_execz .LBB10_23
; %bb.22:
	v_fma_f32 v10, v8, 0.5, -2.0
	v_mov_b32_e32 v12, 0x24199b15
	v_fmac_f32_e32 v12, 0xa2a2e5b9, v10
	v_mov_b32_e32 v13, 0x22a2e5b9
	v_fmac_f32_e32 v13, v10, v12
	v_add_f32_e32 v13, 0xa58c275c, v13
	v_fma_f32 v12, v10, v13, -v12
	v_add_f32_e32 v12, 0x26f736c5, v12
	v_fma_f32 v13, v10, v12, -v13
	;; [unrolled: 2-line block ×23, first 2 shown]
	v_mul_f32_e32 v14, 0x3fb8aa3b, v8
	v_add_f32_e32 v12, 0x3d49f456, v12
	s_mov_b32 s10, 0x3fb8aa3b
	v_rndne_f32_e32 v15, v14
	v_fma_f32 v13, v10, v12, -v13
	v_sub_f32_e32 v16, v14, v15
	v_fma_f32 v14, v8, s10, -v14
	v_add_f32_e32 v13, 0xbdc25b82, v13
	v_fmac_f32_e32 v14, 0x32a5705f, v8
	v_fma_f32 v12, v10, v13, -v12
	v_add_f32_e32 v14, v16, v14
	v_add_f32_e32 v12, 0x3e2fbd64, v12
	v_exp_f32_e32 v14, v14
	v_cvt_i32_f32_e32 v15, v15
	v_fma_f32 v13, v10, v12, -v13
	v_add_f32_e32 v13, 0xbe9bff5e, v13
	v_fma_f32 v10, v10, v13, -v12
	s_mov_b32 s10, 0xc2ce8ed0
	v_add_f32_e32 v10, 0x3f2d4275, v10
	v_ldexp_f32 v13, v14, v15
	v_cmp_ngt_f32_e32 vcc, s10, v8
	s_mov_b32 s10, 0x42b17218
	v_cndmask_b32_e32 v13, 0, v13, vcc
	v_mov_b32_e32 v14, 0x7f800000
	v_cmp_nlt_f32_e32 vcc, s10, v8
	v_sub_f32_e32 v10, v10, v12
	v_cndmask_b32_e32 v8, v14, v13, vcc
	v_mul_f32_e32 v10, 0.5, v10
	v_mul_f32_e32 v10, v8, v10
                                        ; implicit-def: $vgpr8
.LBB10_23:
	s_andn2_saveexec_b64 s[10:11], s[6:7]
	s_cbranch_execz .LBB10_25
; %bb.24:
	s_mov_b32 s13, 0x42000000
	v_div_scale_f32 v10, s[6:7], v8, v8, s13
	v_div_scale_f32 v14, vcc, s13, v8, s13
	s_mov_b32 s6, 0x3fb8aa3b
	v_mul_f32_e32 v15, 0x3fb8aa3b, v8
	s_mov_b32 s7, 0xf800000
	v_mul_f32_e32 v17, 0x4f800000, v8
	v_fma_f32 v19, v8, s6, -v15
	v_cmp_gt_f32_e64 s[6:7], s7, v8
	v_cndmask_b32_e64 v17, v8, v17, s[6:7]
	v_rndne_f32_e32 v18, v15
	v_sub_f32_e32 v15, v15, v18
	v_fmac_f32_e32 v19, 0x32a5705f, v8
	v_add_f32_e32 v15, v15, v19
	v_cvt_i32_f32_e32 v18, v18
	v_rcp_f32_e32 v20, v10
	v_exp_f32_e32 v15, v15
	s_mov_b32 s14, 0xc2ce8ed0
	s_mov_b32 s15, 0x42b17218
	v_fma_f32 v21, -v10, v20, 1.0
	v_fmac_f32_e32 v20, v21, v20
	v_mul_f32_e32 v21, v14, v20
	v_fma_f32 v22, -v10, v21, v14
	v_fmac_f32_e32 v21, v22, v20
	v_fma_f32 v10, -v10, v21, v14
	v_div_fmas_f32 v10, v10, v20, v21
	v_sqrt_f32_e32 v14, v17
	v_ldexp_f32 v15, v15, v18
	v_mov_b32_e32 v12, 0xa2b236d3
	v_mov_b32_e32 v13, 0x23056dbb
	v_add_u32_e32 v19, -1, v14
	v_fma_f32 v21, -v19, v14, v17
	v_cmp_ge_f32_e32 vcc, 0, v21
	v_cndmask_b32_e32 v18, v14, v19, vcc
	v_cmp_ngt_f32_e32 vcc, s14, v8
	v_cndmask_b32_e32 v15, 0, v15, vcc
	v_cmp_nlt_f32_e32 vcc, s15, v8
	v_add_u32_e32 v20, 1, v14
	v_mov_b32_e32 v16, 0x7f800000
	v_cndmask_b32_e32 v15, v16, v15, vcc
	v_div_fixup_f32 v8, v10, v8, s13
	v_add_f32_e32 v8, -2.0, v8
	v_fmac_f32_e32 v12, 0xa3056dbb, v8
	v_fmac_f32_e32 v13, v8, v12
	v_add_f32_e32 v10, 0x244df0c1, v13
	v_fma_f32 v12, v8, v10, -v12
	v_add_f32_e32 v12, 0x241f9ee8, v12
	v_fma_f32 v10, v8, v12, -v10
	;; [unrolled: 2-line block ×22, first 2 shown]
	v_add_f32_e32 v8, 0x3f4df315, v8
	v_sub_f32_e32 v8, v8, v10
	v_fma_f32 v10, -v20, v14, v17
	v_cmp_lt_f32_e32 vcc, 0, v10
	v_cndmask_b32_e32 v10, v18, v20, vcc
	v_mul_f32_e32 v12, 0x37800000, v10
	v_cndmask_b32_e64 v10, v10, v12, s[6:7]
	v_mov_b32_e32 v12, 0x260
	v_mul_f32_e32 v8, 0.5, v8
	v_cmp_class_f32_e32 vcc, v17, v12
	v_mul_f32_e32 v8, v15, v8
	v_cndmask_b32_e32 v10, v10, v17, vcc
	v_div_scale_f32 v12, s[6:7], v10, v10, v8
	v_div_scale_f32 v13, vcc, v8, v10, v8
	v_rcp_f32_e32 v14, v12
	v_fma_f32 v15, -v12, v14, 1.0
	v_fmac_f32_e32 v14, v15, v14
	v_mul_f32_e32 v15, v13, v14
	v_fma_f32 v16, -v12, v15, v13
	v_fmac_f32_e32 v15, v16, v14
	v_fma_f32 v12, -v12, v15, v13
	v_div_fmas_f32 v12, v12, v14, v15
	v_div_fixup_f32 v10, v12, v10, v8
.LBB10_25:
	s_or_b64 exec, exec, s[10:11]
.LBB10_26:
	s_or_b64 exec, exec, s[8:9]
	v_add_u32_e32 v8, 0x300, v7
	v_cmp_lt_i32_e32 vcc, v8, v4
	s_and_saveexec_b64 s[8:9], vcc
	s_cbranch_execnz .LBB10_32
; %bb.27:
	s_or_b64 exec, exec, s[8:9]
	s_and_saveexec_b64 s[6:7], s[4:5]
	s_xor_b64 s[4:5], exec, s[6:7]
	s_cbranch_execnz .LBB10_37
.LBB10_28:
	s_or_b64 exec, exec, s[4:5]
	v_cmp_lt_i32_e32 vcc, v7, v4
	s_and_saveexec_b64 s[4:5], vcc
	s_cbranch_execnz .LBB10_38
.LBB10_29:
	s_or_b64 exec, exec, s[4:5]
	v_cmp_lt_i32_e32 vcc, v7, v4
	s_and_saveexec_b64 s[4:5], vcc
	s_cbranch_execnz .LBB10_39
.LBB10_30:
	s_or_b64 exec, exec, s[4:5]
	v_cmp_lt_i32_e32 vcc, v7, v4
	s_and_saveexec_b64 s[4:5], vcc
	s_cbranch_execnz .LBB10_40
.LBB10_31:
	s_or_b64 exec, exec, s[4:5]
	s_waitcnt vmcnt(0) lgkmcnt(0)
	s_setpc_b64 s[30:31]
.LBB10_32:
	s_mov_b32 s6, 0x41000000
	v_cmp_ge_f32_e32 vcc, s6, v6
	s_and_saveexec_b64 s[6:7], vcc
	s_xor_b64 s[6:7], exec, s[6:7]
                                        ; implicit-def: $vgpr9
	s_cbranch_execz .LBB10_34
; %bb.33:
	v_fma_f32 v8, v6, 0.5, -2.0
	v_mov_b32_e32 v9, 0x24199b15
	v_fmac_f32_e32 v9, 0xa2a2e5b9, v8
	v_mov_b32_e32 v12, 0x22a2e5b9
	v_fmac_f32_e32 v12, v8, v9
	v_add_f32_e32 v12, 0xa58c275c, v12
	v_fma_f32 v9, v8, v12, -v9
	v_add_f32_e32 v9, 0x26f736c5, v9
	v_fma_f32 v12, v8, v9, -v12
	;; [unrolled: 2-line block ×23, first 2 shown]
	v_mul_f32_e32 v13, 0x3fb8aa3b, v6
	v_add_f32_e32 v9, 0x3d49f456, v9
	s_mov_b32 s10, 0x3fb8aa3b
	v_rndne_f32_e32 v14, v13
	v_fma_f32 v12, v8, v9, -v12
	v_sub_f32_e32 v15, v13, v14
	v_fma_f32 v13, v6, s10, -v13
	v_add_f32_e32 v12, 0xbdc25b82, v12
	v_fmac_f32_e32 v13, 0x32a5705f, v6
	v_fma_f32 v9, v8, v12, -v9
	v_add_f32_e32 v13, v15, v13
	v_add_f32_e32 v9, 0x3e2fbd64, v9
	v_exp_f32_e32 v13, v13
	v_cvt_i32_f32_e32 v14, v14
	v_fma_f32 v12, v8, v9, -v12
	v_add_f32_e32 v12, 0xbe9bff5e, v12
	v_fma_f32 v8, v8, v12, -v9
	s_mov_b32 s10, 0xc2ce8ed0
	v_add_f32_e32 v8, 0x3f2d4275, v8
	v_ldexp_f32 v12, v13, v14
	v_cmp_ngt_f32_e32 vcc, s10, v6
	s_mov_b32 s10, 0x42b17218
	v_cndmask_b32_e32 v12, 0, v12, vcc
	v_mov_b32_e32 v13, 0x7f800000
	v_cmp_nlt_f32_e32 vcc, s10, v6
	v_sub_f32_e32 v8, v8, v9
	v_cndmask_b32_e32 v6, v13, v12, vcc
	v_mul_f32_e32 v8, 0.5, v8
	v_mul_f32_e32 v9, v6, v8
                                        ; implicit-def: $vgpr6
.LBB10_34:
	s_andn2_saveexec_b64 s[10:11], s[6:7]
	s_cbranch_execz .LBB10_36
; %bb.35:
	s_mov_b32 s13, 0x42000000
	v_div_scale_f32 v8, s[6:7], v6, v6, s13
	v_div_scale_f32 v13, vcc, s13, v6, s13
	s_mov_b32 s6, 0x3fb8aa3b
	v_mul_f32_e32 v14, 0x3fb8aa3b, v6
	s_mov_b32 s7, 0xf800000
	v_mul_f32_e32 v16, 0x4f800000, v6
	v_fma_f32 v18, v6, s6, -v14
	v_cmp_gt_f32_e64 s[6:7], s7, v6
	v_cndmask_b32_e64 v16, v6, v16, s[6:7]
	v_rndne_f32_e32 v17, v14
	v_sub_f32_e32 v14, v14, v17
	v_fmac_f32_e32 v18, 0x32a5705f, v6
	v_add_f32_e32 v14, v14, v18
	v_cvt_i32_f32_e32 v17, v17
	v_rcp_f32_e32 v19, v8
	v_exp_f32_e32 v14, v14
	s_mov_b32 s14, 0xc2ce8ed0
	s_mov_b32 s15, 0x42b17218
	v_fma_f32 v20, -v8, v19, 1.0
	v_fmac_f32_e32 v19, v20, v19
	v_mul_f32_e32 v20, v13, v19
	v_fma_f32 v21, -v8, v20, v13
	v_fmac_f32_e32 v20, v21, v19
	v_fma_f32 v8, -v8, v20, v13
	v_div_fmas_f32 v8, v8, v19, v20
	v_sqrt_f32_e32 v13, v16
	v_ldexp_f32 v14, v14, v17
	v_mov_b32_e32 v9, 0xa2b236d3
	v_mov_b32_e32 v12, 0x23056dbb
	v_add_u32_e32 v18, -1, v13
	v_fma_f32 v20, -v18, v13, v16
	v_cmp_ge_f32_e32 vcc, 0, v20
	v_cndmask_b32_e32 v17, v13, v18, vcc
	v_cmp_ngt_f32_e32 vcc, s14, v6
	v_cndmask_b32_e32 v14, 0, v14, vcc
	v_cmp_nlt_f32_e32 vcc, s15, v6
	v_add_u32_e32 v19, 1, v13
	v_mov_b32_e32 v15, 0x7f800000
	v_cndmask_b32_e32 v14, v15, v14, vcc
	v_div_fixup_f32 v6, v8, v6, s13
	v_add_f32_e32 v6, -2.0, v6
	v_fmac_f32_e32 v9, 0xa3056dbb, v6
	v_fmac_f32_e32 v12, v6, v9
	v_add_f32_e32 v8, 0x244df0c1, v12
	v_fma_f32 v9, v6, v8, -v9
	v_add_f32_e32 v9, 0x241f9ee8, v9
	v_fma_f32 v8, v6, v9, -v8
	;; [unrolled: 2-line block ×22, first 2 shown]
	v_add_f32_e32 v6, 0x3f4df315, v6
	v_sub_f32_e32 v6, v6, v8
	v_fma_f32 v8, -v19, v13, v16
	v_cmp_lt_f32_e32 vcc, 0, v8
	v_cndmask_b32_e32 v8, v17, v19, vcc
	v_mul_f32_e32 v9, 0x37800000, v8
	v_cndmask_b32_e64 v8, v8, v9, s[6:7]
	v_mov_b32_e32 v9, 0x260
	v_mul_f32_e32 v6, 0.5, v6
	v_cmp_class_f32_e32 vcc, v16, v9
	v_mul_f32_e32 v6, v14, v6
	v_cndmask_b32_e32 v8, v8, v16, vcc
	v_div_scale_f32 v9, s[6:7], v8, v8, v6
	v_div_scale_f32 v12, vcc, v6, v8, v6
	v_rcp_f32_e32 v13, v9
	v_fma_f32 v14, -v9, v13, 1.0
	v_fmac_f32_e32 v13, v14, v13
	v_mul_f32_e32 v14, v12, v13
	v_fma_f32 v15, -v9, v14, v12
	v_fmac_f32_e32 v14, v15, v13
	v_fma_f32 v9, -v9, v14, v12
	v_div_fmas_f32 v9, v9, v13, v14
	v_div_fixup_f32 v9, v9, v8, v6
.LBB10_36:
	s_or_b64 exec, exec, s[10:11]
	s_or_b64 exec, exec, s[8:9]
	s_and_saveexec_b64 s[6:7], s[4:5]
	s_xor_b64 s[4:5], exec, s[6:7]
	s_cbranch_execz .LBB10_28
.LBB10_37:
	v_mov_b32_e32 v6, 0
	v_lshlrev_b64 v[5:6], 2, v[5:6]
	v_mov_b32_e32 v7, v3
	v_add_co_u32_e32 v5, vcc, v0, v5
	v_addc_co_u32_e32 v6, vcc, v1, v6, vcc
	flat_store_dword v[5:6], v2
	s_or_b64 exec, exec, s[4:5]
	v_cmp_lt_i32_e32 vcc, v7, v4
	s_and_saveexec_b64 s[4:5], vcc
	s_cbranch_execz .LBB10_29
.LBB10_38:
	v_add_u32_e32 v2, s12, v7
	v_mov_b32_e32 v3, 0
	v_lshlrev_b64 v[2:3], 2, v[2:3]
	v_add_u32_e32 v7, 0x100, v7
	v_add_co_u32_e32 v2, vcc, v0, v2
	v_addc_co_u32_e32 v3, vcc, v1, v3, vcc
	flat_store_dword v[2:3], v11
	s_or_b64 exec, exec, s[4:5]
	v_cmp_lt_i32_e32 vcc, v7, v4
	s_and_saveexec_b64 s[4:5], vcc
	s_cbranch_execz .LBB10_30
.LBB10_39:
	v_add_u32_e32 v2, s12, v7
	v_mov_b32_e32 v3, 0
	v_lshlrev_b64 v[2:3], 2, v[2:3]
	v_add_u32_e32 v7, 0x100, v7
	v_add_co_u32_e32 v2, vcc, v0, v2
	v_addc_co_u32_e32 v3, vcc, v1, v3, vcc
	flat_store_dword v[2:3], v10
	s_or_b64 exec, exec, s[4:5]
	v_cmp_lt_i32_e32 vcc, v7, v4
	s_and_saveexec_b64 s[4:5], vcc
	s_cbranch_execz .LBB10_31
.LBB10_40:
	v_add_u32_e32 v2, s12, v7
	v_mov_b32_e32 v3, 0
	v_lshlrev_b64 v[2:3], 2, v[2:3]
	v_add_co_u32_e32 v0, vcc, v0, v2
	v_addc_co_u32_e32 v1, vcc, v1, v3, vcc
	flat_store_dword v[0:1], v9
	s_or_b64 exec, exec, s[4:5]
	s_waitcnt vmcnt(0) lgkmcnt(0)
	s_setpc_b64 s[30:31]
.Lfunc_end10:
	.size	_ZN2at6native25elementwise_kernel_helperILb0EZZZNS0_12_GLOBAL__N_130modified_bessel_i0_kernel_cudaERNS_18TensorIteratorBaseEENKUlvE_clEvENKUlvE0_clEvEUlfE_NS0_6memory8policies11unroll_baseILi256ESt5arrayIPcLm2EE23TrivialOffsetCalculatorILi1EjESF_NS8_15LoadWithoutCastENS8_16StoreWithoutCastELi4ELi1EEEEEvT0_T1_, .Lfunc_end10-_ZN2at6native25elementwise_kernel_helperILb0EZZZNS0_12_GLOBAL__N_130modified_bessel_i0_kernel_cudaERNS_18TensorIteratorBaseEENKUlvE_clEvENKUlvE0_clEvEUlfE_NS0_6memory8policies11unroll_baseILi256ESt5arrayIPcLm2EE23TrivialOffsetCalculatorILi1EjESF_NS8_15LoadWithoutCastENS8_16StoreWithoutCastELi4ELi1EEEEEvT0_T1_
                                        ; -- End function
	.set .L_ZN2at6native25elementwise_kernel_helperILb0EZZZNS0_12_GLOBAL__N_130modified_bessel_i0_kernel_cudaERNS_18TensorIteratorBaseEENKUlvE_clEvENKUlvE0_clEvEUlfE_NS0_6memory8policies11unroll_baseILi256ESt5arrayIPcLm2EE23TrivialOffsetCalculatorILi1EjESF_NS8_15LoadWithoutCastENS8_16StoreWithoutCastELi4ELi1EEEEEvT0_T1_.num_vgpr, 32
	.set .L_ZN2at6native25elementwise_kernel_helperILb0EZZZNS0_12_GLOBAL__N_130modified_bessel_i0_kernel_cudaERNS_18TensorIteratorBaseEENKUlvE_clEvENKUlvE0_clEvEUlfE_NS0_6memory8policies11unroll_baseILi256ESt5arrayIPcLm2EE23TrivialOffsetCalculatorILi1EjESF_NS8_15LoadWithoutCastENS8_16StoreWithoutCastELi4ELi1EEEEEvT0_T1_.num_agpr, 0
	.set .L_ZN2at6native25elementwise_kernel_helperILb0EZZZNS0_12_GLOBAL__N_130modified_bessel_i0_kernel_cudaERNS_18TensorIteratorBaseEENKUlvE_clEvENKUlvE0_clEvEUlfE_NS0_6memory8policies11unroll_baseILi256ESt5arrayIPcLm2EE23TrivialOffsetCalculatorILi1EjESF_NS8_15LoadWithoutCastENS8_16StoreWithoutCastELi4ELi1EEEEEvT0_T1_.numbered_sgpr, 32
	.set .L_ZN2at6native25elementwise_kernel_helperILb0EZZZNS0_12_GLOBAL__N_130modified_bessel_i0_kernel_cudaERNS_18TensorIteratorBaseEENKUlvE_clEvENKUlvE0_clEvEUlfE_NS0_6memory8policies11unroll_baseILi256ESt5arrayIPcLm2EE23TrivialOffsetCalculatorILi1EjESF_NS8_15LoadWithoutCastENS8_16StoreWithoutCastELi4ELi1EEEEEvT0_T1_.num_named_barrier, 0
	.set .L_ZN2at6native25elementwise_kernel_helperILb0EZZZNS0_12_GLOBAL__N_130modified_bessel_i0_kernel_cudaERNS_18TensorIteratorBaseEENKUlvE_clEvENKUlvE0_clEvEUlfE_NS0_6memory8policies11unroll_baseILi256ESt5arrayIPcLm2EE23TrivialOffsetCalculatorILi1EjESF_NS8_15LoadWithoutCastENS8_16StoreWithoutCastELi4ELi1EEEEEvT0_T1_.private_seg_size, 0
	.set .L_ZN2at6native25elementwise_kernel_helperILb0EZZZNS0_12_GLOBAL__N_130modified_bessel_i0_kernel_cudaERNS_18TensorIteratorBaseEENKUlvE_clEvENKUlvE0_clEvEUlfE_NS0_6memory8policies11unroll_baseILi256ESt5arrayIPcLm2EE23TrivialOffsetCalculatorILi1EjESF_NS8_15LoadWithoutCastENS8_16StoreWithoutCastELi4ELi1EEEEEvT0_T1_.uses_vcc, 1
	.set .L_ZN2at6native25elementwise_kernel_helperILb0EZZZNS0_12_GLOBAL__N_130modified_bessel_i0_kernel_cudaERNS_18TensorIteratorBaseEENKUlvE_clEvENKUlvE0_clEvEUlfE_NS0_6memory8policies11unroll_baseILi256ESt5arrayIPcLm2EE23TrivialOffsetCalculatorILi1EjESF_NS8_15LoadWithoutCastENS8_16StoreWithoutCastELi4ELi1EEEEEvT0_T1_.uses_flat_scratch, 0
	.set .L_ZN2at6native25elementwise_kernel_helperILb0EZZZNS0_12_GLOBAL__N_130modified_bessel_i0_kernel_cudaERNS_18TensorIteratorBaseEENKUlvE_clEvENKUlvE0_clEvEUlfE_NS0_6memory8policies11unroll_baseILi256ESt5arrayIPcLm2EE23TrivialOffsetCalculatorILi1EjESF_NS8_15LoadWithoutCastENS8_16StoreWithoutCastELi4ELi1EEEEEvT0_T1_.has_dyn_sized_stack, 0
	.set .L_ZN2at6native25elementwise_kernel_helperILb0EZZZNS0_12_GLOBAL__N_130modified_bessel_i0_kernel_cudaERNS_18TensorIteratorBaseEENKUlvE_clEvENKUlvE0_clEvEUlfE_NS0_6memory8policies11unroll_baseILi256ESt5arrayIPcLm2EE23TrivialOffsetCalculatorILi1EjESF_NS8_15LoadWithoutCastENS8_16StoreWithoutCastELi4ELi1EEEEEvT0_T1_.has_recursion, 0
	.set .L_ZN2at6native25elementwise_kernel_helperILb0EZZZNS0_12_GLOBAL__N_130modified_bessel_i0_kernel_cudaERNS_18TensorIteratorBaseEENKUlvE_clEvENKUlvE0_clEvEUlfE_NS0_6memory8policies11unroll_baseILi256ESt5arrayIPcLm2EE23TrivialOffsetCalculatorILi1EjESF_NS8_15LoadWithoutCastENS8_16StoreWithoutCastELi4ELi1EEEEEvT0_T1_.has_indirect_call, 0
	.section	.AMDGPU.csdata,"",@progbits
; Function info:
; codeLenInByte = 6260
; TotalNumSgprs: 36
; NumVgprs: 32
; ScratchSize: 0
; MemoryBound: 0
	.section	.text._ZN2at6native29vectorized_elementwise_kernelILi16EZZZNS0_12_GLOBAL__N_130modified_bessel_i0_kernel_cudaERNS_18TensorIteratorBaseEENKUlvE_clEvENKUlvE0_clEvEUlfE_St5arrayIPcLm2EEEEviT0_T1_,"axG",@progbits,_ZN2at6native29vectorized_elementwise_kernelILi16EZZZNS0_12_GLOBAL__N_130modified_bessel_i0_kernel_cudaERNS_18TensorIteratorBaseEENKUlvE_clEvENKUlvE0_clEvEUlfE_St5arrayIPcLm2EEEEviT0_T1_,comdat
	.globl	_ZN2at6native29vectorized_elementwise_kernelILi16EZZZNS0_12_GLOBAL__N_130modified_bessel_i0_kernel_cudaERNS_18TensorIteratorBaseEENKUlvE_clEvENKUlvE0_clEvEUlfE_St5arrayIPcLm2EEEEviT0_T1_ ; -- Begin function _ZN2at6native29vectorized_elementwise_kernelILi16EZZZNS0_12_GLOBAL__N_130modified_bessel_i0_kernel_cudaERNS_18TensorIteratorBaseEENKUlvE_clEvENKUlvE0_clEvEUlfE_St5arrayIPcLm2EEEEviT0_T1_
	.p2align	8
	.type	_ZN2at6native29vectorized_elementwise_kernelILi16EZZZNS0_12_GLOBAL__N_130modified_bessel_i0_kernel_cudaERNS_18TensorIteratorBaseEENKUlvE_clEvENKUlvE0_clEvEUlfE_St5arrayIPcLm2EEEEviT0_T1_,@function
_ZN2at6native29vectorized_elementwise_kernelILi16EZZZNS0_12_GLOBAL__N_130modified_bessel_i0_kernel_cudaERNS_18TensorIteratorBaseEENKUlvE_clEvENKUlvE0_clEvEUlfE_St5arrayIPcLm2EEEEviT0_T1_: ; @_ZN2at6native29vectorized_elementwise_kernelILi16EZZZNS0_12_GLOBAL__N_130modified_bessel_i0_kernel_cudaERNS_18TensorIteratorBaseEENKUlvE_clEvENKUlvE0_clEvEUlfE_St5arrayIPcLm2EEEEviT0_T1_
; %bb.0:
	s_add_u32 s0, s0, s7
	s_load_dword s7, s[4:5], 0x0
	s_load_dwordx4 s[8:11], s[4:5], 0x8
	s_addc_u32 s1, s1, 0
	s_lshl_b32 s4, s6, 10
	s_mov_b64 s[12:13], -1
	s_waitcnt lgkmcnt(0)
	s_sub_i32 s7, s7, s4
	s_cmpk_gt_i32 s7, 0x3ff
	s_mov_b32 s32, 0
	s_cbranch_scc1 .LBB11_3
; %bb.1:
	s_and_b64 vcc, exec, s[12:13]
	s_cbranch_vccnz .LBB11_20
.LBB11_2:
	s_endpgm
.LBB11_3:
	s_ashr_i32 s5, s4, 31
	s_lshl_b64 s[12:13], s[4:5], 2
	s_add_u32 s4, s10, s12
	s_addc_u32 s5, s11, s13
	v_lshlrev_b32_e32 v9, 4, v0
	global_load_dwordx4 v[1:4], v9, s[4:5]
	s_mov_b32 s4, 0x41000000
                                        ; implicit-def: $vgpr5
	s_waitcnt vmcnt(0)
	v_cmp_le_f32_e64 s[4:5], |v1|, s4
	s_and_saveexec_b64 s[14:15], s[4:5]
	s_xor_b64 s[4:5], exec, s[14:15]
	s_cbranch_execz .LBB11_5
; %bb.4:
	v_fma_f32 v5, |v1|, 0.5, -2.0
	v_mov_b32_e32 v6, 0x24199b15
	v_fmac_f32_e32 v6, 0xa2a2e5b9, v5
	v_mov_b32_e32 v7, 0x22a2e5b9
	v_fmac_f32_e32 v7, v5, v6
	v_add_f32_e32 v7, 0xa58c275c, v7
	v_fma_f32 v6, v5, v7, -v6
	v_add_f32_e32 v6, 0x26f736c5, v6
	v_fma_f32 v7, v5, v6, -v7
	v_add_f32_e32 v7, 0xa8528116, v7
	v_fma_f32 v6, v5, v7, -v6
	v_add_f32_e32 v6, 0x29acda32, v6
	v_fma_f32 v7, v5, v6, -v7
	v_add_f32_e32 v7, 0xab08b263, v7
	v_fma_f32 v6, v5, v7, -v6
	v_add_f32_e32 v6, 0x2c4ff17f, v6
	v_fma_f32 v7, v5, v6, -v7
	v_add_f32_e32 v7, 0xad97e4ac, v7
	v_fma_f32 v6, v5, v7, -v6
	v_add_f32_e32 v6, 0x2ed4c5f6, v6
	v_fma_f32 v7, v5, v6, -v7
	v_add_f32_e32 v7, 0xb00ea7f1, v7
	v_fma_f32 v6, v5, v7, -v6
	v_add_f32_e32 v6, 0x3136c81d, v6
	v_fma_f32 v7, v5, v6, -v7
	v_add_f32_e32 v7, 0xb25f57b4, v7
	v_fma_f32 v6, v5, v7, -v6
	v_add_f32_e32 v6, 0x3381dbb5, v6
	v_fma_f32 v7, v5, v6, -v7
	v_add_f32_e32 v7, 0xb48f631c, v7
	v_fma_f32 v6, v5, v7, -v6
	v_add_f32_e32 v6, 0x3595f925, v6
	v_fma_f32 v7, v5, v6, -v7
	v_add_f32_e32 v7, 0xb694337e, v7
	v_fma_f32 v6, v5, v7, -v6
	v_add_f32_e32 v6, 0x3789fac6, v6
	v_fma_f32 v7, v5, v6, -v7
	v_add_f32_e32 v7, 0xb8715933, v7
	v_fma_f32 v6, v5, v7, -v6
	v_add_f32_e32 v6, 0x3945a8dc, v6
	v_fma_f32 v7, v5, v6, -v7
	v_add_f32_e32 v7, 0xba1717e9, v7
	v_fma_f32 v6, v5, v7, -v6
	v_add_f32_e32 v6, 0x3ad6e3ac, v6
	v_fma_f32 v7, v5, v6, -v7
	v_add_f32_e32 v7, 0xbb8db2f1, v7
	v_fma_f32 v6, v5, v7, -v6
	v_add_f32_e32 v6, 0x3c2ccb10, v6
	v_fma_f32 v7, v5, v6, -v7
	v_add_f32_e32 v7, 0xbcc274f8, v7
	s_mov_b32 s14, 0x3fb8aa3b
	v_fma_f32 v6, v5, v7, -v6
	v_mul_f32_e64 v8, |v1|, s14
	v_add_f32_e32 v6, 0x3d49f456, v6
	v_rndne_f32_e32 v10, v8
	v_fma_f32 v7, v5, v6, -v7
	v_sub_f32_e32 v11, v8, v10
	v_fma_f32 v8, |v1|, s14, -v8
	s_mov_b32 s14, 0x32a5705f
	v_add_f32_e32 v7, 0xbdc25b82, v7
	v_fma_f32 v8, |v1|, s14, v8
	v_fma_f32 v6, v5, v7, -v6
	v_add_f32_e32 v8, v11, v8
	v_add_f32_e32 v6, 0x3e2fbd64, v6
	v_exp_f32_e32 v8, v8
	v_cvt_i32_f32_e32 v10, v10
	v_fma_f32 v7, v5, v6, -v7
	v_add_f32_e32 v7, 0xbe9bff5e, v7
	v_fma_f32 v5, v5, v7, -v6
	s_mov_b32 s14, 0xc2ce8ed0
	v_add_f32_e32 v5, 0x3f2d4275, v5
	v_ldexp_f32 v7, v8, v10
	v_cmp_nlt_f32_e64 vcc, |v1|, s14
	s_mov_b32 s14, 0x42b17218
	v_cndmask_b32_e32 v7, 0, v7, vcc
	v_mov_b32_e32 v8, 0x7f800000
	v_cmp_ngt_f32_e64 vcc, |v1|, s14
	v_sub_f32_e32 v5, v5, v6
	v_cndmask_b32_e32 v7, v8, v7, vcc
	v_mul_f32_e32 v5, 0.5, v5
	v_mul_f32_e32 v5, v7, v5
.LBB11_5:
	s_andn2_saveexec_b64 s[14:15], s[4:5]
	s_cbranch_execz .LBB11_7
; %bb.6:
	v_and_b32_e32 v5, 0x7fffffff, v1
	s_mov_b32 s16, 0x42000000
	v_div_scale_f32 v6, s[4:5], v5, v5, s16
	v_div_scale_f32 v5, vcc, s16, v5, s16
	s_mov_b32 s4, 0x3fb8aa3b
	v_mul_f32_e64 v10, |v1|, s4
	s_mov_b32 s5, 0x32a5705f
	v_rndne_f32_e32 v13, v10
	v_fma_f32 v14, |v1|, s4, -v10
	s_mov_b32 s19, 0xf800000
	s_mov_b32 s20, 0x4f800000
	v_sub_f32_e32 v10, v10, v13
	v_mul_f32_e64 v12, |v1|, s20
	s_mov_b32 s17, 0xc2ce8ed0
	s_mov_b32 s18, 0x42b17218
	v_mov_b32_e32 v7, 0xa2b236d3
	v_rcp_f32_e32 v11, v6
	v_mov_b32_e32 v8, 0x23056dbb
	v_fma_f32 v15, -v6, v11, 1.0
	v_fmac_f32_e32 v11, v15, v11
	v_mul_f32_e32 v15, v5, v11
	v_fma_f32 v16, -v6, v15, v5
	v_fmac_f32_e32 v15, v16, v11
	v_fma_f32 v5, -v6, v15, v5
	v_div_fmas_f32 v5, v5, v11, v15
	v_fma_f32 v11, |v1|, s5, v14
	v_cmp_lt_f32_e64 vcc, |v1|, s19
	v_add_f32_e32 v10, v10, v11
	v_cndmask_b32_e64 v6, |v1|, v12, vcc
	v_cvt_i32_f32_e32 v12, v13
	v_exp_f32_e32 v10, v10
	v_cmp_nlt_f32_e64 s[4:5], |v1|, s17
	v_sqrt_f32_e32 v13, v6
	v_mov_b32_e32 v11, 0x7f800000
	v_ldexp_f32 v10, v10, v12
	v_cndmask_b32_e64 v10, 0, v10, s[4:5]
	v_cmp_ngt_f32_e64 s[4:5], |v1|, s18
	v_add_u32_e32 v14, -1, v13
	v_fma_f32 v15, -v14, v13, v6
	v_cndmask_b32_e64 v10, v11, v10, s[4:5]
	v_div_fixup_f32 v1, v5, |v1|, s16
	v_add_f32_e32 v1, -2.0, v1
	v_fmac_f32_e32 v7, 0xa3056dbb, v1
	v_fmac_f32_e32 v8, v1, v7
	v_add_f32_e32 v5, 0x244df0c1, v8
	v_fma_f32 v7, v1, v5, -v7
	v_add_f32_e32 v7, 0x241f9ee8, v7
	v_fma_f32 v5, v1, v7, -v5
	v_add_f32_e32 v5, 0xa5a3005d, v5
	v_fma_f32 v7, v1, v5, -v7
	v_add_f32_e32 v7, 0xa5c5773f, v7
	v_fma_f32 v5, v1, v7, -v5
	v_add_f32_e32 v5, 0x26ff73ed, v5
	v_fma_f32 v7, v1, v5, -v7
	v_add_f32_e32 v7, 0x2789548d, v7
	v_fma_f32 v5, v1, v7, -v5
	v_add_f32_e32 v5, 0xa82c1ff4, v5
	v_fma_f32 v7, v1, v5, -v7
	v_add_f32_e32 v7, 0xa93aecce, v7
	v_fma_f32 v5, v1, v7, -v5
	v_add_f32_e32 v5, 0x288ab7f8, v5
	v_fma_f32 v7, v1, v5, -v7
	v_add_f32_e32 v7, 0x2ad8e463, v7
	v_fma_f32 v5, v1, v7, -v5
	v_add_f32_e32 v5, 0x2b4a1a40, v5
	v_fma_f32 v7, v1, v5, -v7
	v_add_f32_e32 v7, 0xabfc8218, v7
	v_fma_f32 v5, v1, v7, -v5
	v_add_f32_e32 v5, 0xad687eba, v5
	v_fma_f32 v7, v1, v5, -v7
	v_add_f32_e32 v7, 0xae0a88e8, v7
	v_fma_f32 v5, v1, v7, -v5
	v_add_f32_e32 v5, 0x2d5127f5, v5
	v_fma_f32 v7, v1, v5, -v7
	v_add_f32_e32 v7, 0x3007ce66, v7
	v_fma_f32 v5, v1, v7, -v5
	v_add_f32_e32 v5, 0x31696325, v5
	v_fma_f32 v7, v1, v5, -v7
	v_add_f32_e32 v7, 0x32c2b494, v7
	v_fma_f32 v5, v1, v7, -v5
	v_add_f32_e32 v5, 0x345c003f, v5
	v_fma_f32 v7, v1, v5, -v7
	v_add_f32_e32 v7, 0x3642095e, v7
	v_fma_f32 v5, v1, v7, -v5
	v_add_f32_e32 v5, 0x38907d1c, v5
	v_fma_f32 v7, v1, v5, -v7
	v_add_f32_e32 v7, 0x3b5ccc65, v7
	v_fma_f32 v1, v1, v7, -v5
	v_add_u32_e32 v7, 1, v13
	v_add_f32_e32 v1, 0x3f4df315, v1
	v_cmp_ge_f32_e64 s[4:5], 0, v15
	v_fma_f32 v8, -v7, v13, v6
	v_sub_f32_e32 v1, v1, v5
	v_cndmask_b32_e64 v5, v13, v14, s[4:5]
	v_cmp_lt_f32_e64 s[4:5], 0, v8
	v_cndmask_b32_e64 v5, v5, v7, s[4:5]
	v_mul_f32_e32 v7, 0x37800000, v5
	v_cndmask_b32_e32 v5, v5, v7, vcc
	v_mov_b32_e32 v7, 0x260
	v_mul_f32_e32 v1, 0.5, v1
	v_cmp_class_f32_e32 vcc, v6, v7
	v_mul_f32_e32 v1, v10, v1
	v_cndmask_b32_e32 v5, v5, v6, vcc
	v_div_scale_f32 v6, s[4:5], v5, v5, v1
	v_div_scale_f32 v7, vcc, v1, v5, v1
	v_rcp_f32_e32 v8, v6
	v_fma_f32 v10, -v6, v8, 1.0
	v_fmac_f32_e32 v8, v10, v8
	v_mul_f32_e32 v10, v7, v8
	v_fma_f32 v11, -v6, v10, v7
	v_fmac_f32_e32 v10, v11, v8
	v_fma_f32 v6, -v6, v10, v7
	v_div_fmas_f32 v6, v6, v8, v10
	v_div_fixup_f32 v5, v6, v5, v1
.LBB11_7:
	s_or_b64 exec, exec, s[14:15]
	s_mov_b32 s4, 0x41000000
	v_cmp_le_f32_e64 s[4:5], |v2|, s4
	s_and_saveexec_b64 s[14:15], s[4:5]
	s_xor_b64 s[4:5], exec, s[14:15]
	s_cbranch_execz .LBB11_9
; %bb.8:
	v_fma_f32 v1, |v2|, 0.5, -2.0
	v_mov_b32_e32 v6, 0x24199b15
	v_fmac_f32_e32 v6, 0xa2a2e5b9, v1
	v_mov_b32_e32 v7, 0x22a2e5b9
	v_fmac_f32_e32 v7, v1, v6
	v_add_f32_e32 v7, 0xa58c275c, v7
	v_fma_f32 v6, v1, v7, -v6
	v_add_f32_e32 v6, 0x26f736c5, v6
	v_fma_f32 v7, v1, v6, -v7
	;; [unrolled: 2-line block ×22, first 2 shown]
	v_add_f32_e32 v7, 0xbcc274f8, v7
	s_mov_b32 s14, 0x3fb8aa3b
	v_fma_f32 v6, v1, v7, -v6
	v_mul_f32_e64 v8, |v2|, s14
	v_add_f32_e32 v6, 0x3d49f456, v6
	v_rndne_f32_e32 v10, v8
	v_fma_f32 v7, v1, v6, -v7
	v_sub_f32_e32 v11, v8, v10
	v_fma_f32 v8, |v2|, s14, -v8
	s_mov_b32 s14, 0x32a5705f
	v_add_f32_e32 v7, 0xbdc25b82, v7
	v_fma_f32 v8, |v2|, s14, v8
	v_fma_f32 v6, v1, v7, -v6
	v_add_f32_e32 v8, v11, v8
	v_add_f32_e32 v6, 0x3e2fbd64, v6
	v_exp_f32_e32 v8, v8
	v_cvt_i32_f32_e32 v10, v10
	v_fma_f32 v7, v1, v6, -v7
	v_add_f32_e32 v7, 0xbe9bff5e, v7
	v_fma_f32 v1, v1, v7, -v6
	s_mov_b32 s14, 0xc2ce8ed0
	v_add_f32_e32 v1, 0x3f2d4275, v1
	v_ldexp_f32 v7, v8, v10
	v_cmp_nlt_f32_e64 vcc, |v2|, s14
	s_mov_b32 s14, 0x42b17218
	v_cndmask_b32_e32 v7, 0, v7, vcc
	v_mov_b32_e32 v8, 0x7f800000
	v_cmp_ngt_f32_e64 vcc, |v2|, s14
	v_sub_f32_e32 v1, v1, v6
	v_cndmask_b32_e32 v7, v8, v7, vcc
	v_mul_f32_e32 v1, 0.5, v1
	v_mul_f32_e32 v6, v7, v1
.LBB11_9:
	s_andn2_saveexec_b64 s[14:15], s[4:5]
	s_cbranch_execz .LBB11_11
; %bb.10:
	v_and_b32_e32 v1, 0x7fffffff, v2
	s_mov_b32 s16, 0x42000000
	v_div_scale_f32 v6, s[4:5], v1, v1, s16
	v_div_scale_f32 v1, vcc, s16, v1, s16
	s_mov_b32 s4, 0x3fb8aa3b
	v_mul_f32_e64 v10, |v2|, s4
	s_mov_b32 s5, 0x32a5705f
	v_rndne_f32_e32 v13, v10
	v_fma_f32 v14, |v2|, s4, -v10
	s_mov_b32 s19, 0xf800000
	s_mov_b32 s20, 0x4f800000
	v_sub_f32_e32 v10, v10, v13
	v_mul_f32_e64 v12, |v2|, s20
	v_mov_b32_e32 v7, 0xa2b236d3
	v_mov_b32_e32 v8, 0x23056dbb
	s_mov_b32 s17, 0xc2ce8ed0
	v_rcp_f32_e32 v11, v6
	s_mov_b32 s18, 0x42b17218
	v_fma_f32 v15, -v6, v11, 1.0
	v_fmac_f32_e32 v11, v15, v11
	v_mul_f32_e32 v15, v1, v11
	v_fma_f32 v16, -v6, v15, v1
	v_fmac_f32_e32 v15, v16, v11
	v_fma_f32 v1, -v6, v15, v1
	v_div_fmas_f32 v1, v1, v11, v15
	v_fma_f32 v11, |v2|, s5, v14
	v_cmp_lt_f32_e64 vcc, |v2|, s19
	v_add_f32_e32 v10, v10, v11
	v_cndmask_b32_e64 v6, |v2|, v12, vcc
	v_cvt_i32_f32_e32 v12, v13
	v_exp_f32_e32 v10, v10
	v_cmp_nlt_f32_e64 s[4:5], |v2|, s17
	v_sqrt_f32_e32 v13, v6
	v_mov_b32_e32 v11, 0x7f800000
	v_ldexp_f32 v10, v10, v12
	v_cndmask_b32_e64 v10, 0, v10, s[4:5]
	v_cmp_ngt_f32_e64 s[4:5], |v2|, s18
	v_add_u32_e32 v14, -1, v13
	v_fma_f32 v15, -v14, v13, v6
	v_cndmask_b32_e64 v10, v11, v10, s[4:5]
	v_div_fixup_f32 v1, v1, |v2|, s16
	v_add_f32_e32 v1, -2.0, v1
	v_fmac_f32_e32 v7, 0xa3056dbb, v1
	v_fmac_f32_e32 v8, v1, v7
	v_add_f32_e32 v2, 0x244df0c1, v8
	v_fma_f32 v7, v1, v2, -v7
	v_add_f32_e32 v7, 0x241f9ee8, v7
	v_fma_f32 v2, v1, v7, -v2
	;; [unrolled: 2-line block ×22, first 2 shown]
	v_add_u32_e32 v7, 1, v13
	v_add_f32_e32 v1, 0x3f4df315, v1
	v_cmp_ge_f32_e64 s[4:5], 0, v15
	v_fma_f32 v8, -v7, v13, v6
	v_sub_f32_e32 v1, v1, v2
	v_cndmask_b32_e64 v2, v13, v14, s[4:5]
	v_cmp_lt_f32_e64 s[4:5], 0, v8
	v_cndmask_b32_e64 v2, v2, v7, s[4:5]
	v_mul_f32_e32 v7, 0x37800000, v2
	v_cndmask_b32_e32 v2, v2, v7, vcc
	v_mov_b32_e32 v7, 0x260
	v_mul_f32_e32 v1, 0.5, v1
	v_cmp_class_f32_e32 vcc, v6, v7
	v_mul_f32_e32 v1, v10, v1
	v_cndmask_b32_e32 v2, v2, v6, vcc
	v_div_scale_f32 v6, s[4:5], v2, v2, v1
	v_div_scale_f32 v7, vcc, v1, v2, v1
	v_rcp_f32_e32 v8, v6
	v_fma_f32 v10, -v6, v8, 1.0
	v_fmac_f32_e32 v8, v10, v8
	v_mul_f32_e32 v10, v7, v8
	v_fma_f32 v11, -v6, v10, v7
	v_fmac_f32_e32 v10, v11, v8
	v_fma_f32 v6, -v6, v10, v7
	v_div_fmas_f32 v6, v6, v8, v10
	v_div_fixup_f32 v6, v6, v2, v1
.LBB11_11:
	s_or_b64 exec, exec, s[14:15]
	s_mov_b32 s4, 0x41000000
	v_cmp_le_f32_e64 s[4:5], |v3|, s4
	s_and_saveexec_b64 s[14:15], s[4:5]
	s_xor_b64 s[4:5], exec, s[14:15]
	s_cbranch_execz .LBB11_13
; %bb.12:
	v_fma_f32 v1, |v3|, 0.5, -2.0
	v_mov_b32_e32 v2, 0x24199b15
	v_fmac_f32_e32 v2, 0xa2a2e5b9, v1
	v_mov_b32_e32 v7, 0x22a2e5b9
	v_fmac_f32_e32 v7, v1, v2
	v_add_f32_e32 v7, 0xa58c275c, v7
	v_fma_f32 v2, v1, v7, -v2
	v_add_f32_e32 v2, 0x26f736c5, v2
	v_fma_f32 v7, v1, v2, -v7
	;; [unrolled: 2-line block ×22, first 2 shown]
	v_add_f32_e32 v7, 0xbcc274f8, v7
	s_mov_b32 s14, 0x3fb8aa3b
	v_fma_f32 v2, v1, v7, -v2
	v_mul_f32_e64 v8, |v3|, s14
	v_add_f32_e32 v2, 0x3d49f456, v2
	v_rndne_f32_e32 v10, v8
	v_fma_f32 v7, v1, v2, -v7
	v_sub_f32_e32 v11, v8, v10
	v_fma_f32 v8, |v3|, s14, -v8
	s_mov_b32 s14, 0x32a5705f
	v_add_f32_e32 v7, 0xbdc25b82, v7
	v_fma_f32 v8, |v3|, s14, v8
	v_fma_f32 v2, v1, v7, -v2
	v_add_f32_e32 v8, v11, v8
	v_add_f32_e32 v2, 0x3e2fbd64, v2
	v_exp_f32_e32 v8, v8
	v_cvt_i32_f32_e32 v10, v10
	v_fma_f32 v7, v1, v2, -v7
	v_add_f32_e32 v7, 0xbe9bff5e, v7
	v_fma_f32 v1, v1, v7, -v2
	s_mov_b32 s14, 0xc2ce8ed0
	v_add_f32_e32 v1, 0x3f2d4275, v1
	v_ldexp_f32 v7, v8, v10
	v_cmp_nlt_f32_e64 vcc, |v3|, s14
	s_mov_b32 s14, 0x42b17218
	v_cndmask_b32_e32 v7, 0, v7, vcc
	v_mov_b32_e32 v8, 0x7f800000
	v_cmp_ngt_f32_e64 vcc, |v3|, s14
	v_sub_f32_e32 v1, v1, v2
	v_cndmask_b32_e32 v7, v8, v7, vcc
	v_mul_f32_e32 v1, 0.5, v1
	v_mul_f32_e32 v7, v7, v1
.LBB11_13:
	s_andn2_saveexec_b64 s[14:15], s[4:5]
	s_cbranch_execz .LBB11_15
; %bb.14:
	v_and_b32_e32 v1, 0x7fffffff, v3
	s_mov_b32 s16, 0x42000000
	v_div_scale_f32 v2, s[4:5], v1, v1, s16
	v_div_scale_f32 v1, vcc, s16, v1, s16
	s_mov_b32 s4, 0x3fb8aa3b
	v_mul_f32_e64 v10, |v3|, s4
	s_mov_b32 s5, 0x32a5705f
	v_rndne_f32_e32 v13, v10
	v_fma_f32 v14, |v3|, s4, -v10
	s_mov_b32 s19, 0xf800000
	s_mov_b32 s20, 0x4f800000
	v_sub_f32_e32 v10, v10, v13
	v_mul_f32_e64 v12, |v3|, s20
	v_mov_b32_e32 v7, 0xa2b236d3
	v_mov_b32_e32 v8, 0x23056dbb
	s_mov_b32 s17, 0xc2ce8ed0
	v_rcp_f32_e32 v11, v2
	s_mov_b32 s18, 0x42b17218
	v_fma_f32 v15, -v2, v11, 1.0
	v_fmac_f32_e32 v11, v15, v11
	v_mul_f32_e32 v15, v1, v11
	v_fma_f32 v16, -v2, v15, v1
	v_fmac_f32_e32 v15, v16, v11
	v_fma_f32 v1, -v2, v15, v1
	v_div_fmas_f32 v1, v1, v11, v15
	v_fma_f32 v11, |v3|, s5, v14
	v_cmp_lt_f32_e64 vcc, |v3|, s19
	v_add_f32_e32 v10, v10, v11
	v_cndmask_b32_e64 v2, |v3|, v12, vcc
	v_cvt_i32_f32_e32 v12, v13
	v_exp_f32_e32 v10, v10
	v_cmp_nlt_f32_e64 s[4:5], |v3|, s17
	v_sqrt_f32_e32 v13, v2
	v_mov_b32_e32 v11, 0x7f800000
	v_ldexp_f32 v10, v10, v12
	v_cndmask_b32_e64 v10, 0, v10, s[4:5]
	v_cmp_ngt_f32_e64 s[4:5], |v3|, s18
	v_add_u32_e32 v14, -1, v13
	v_fma_f32 v15, -v14, v13, v2
	v_cndmask_b32_e64 v10, v11, v10, s[4:5]
	v_div_fixup_f32 v1, v1, |v3|, s16
	v_add_f32_e32 v1, -2.0, v1
	v_fmac_f32_e32 v7, 0xa3056dbb, v1
	v_fmac_f32_e32 v8, v1, v7
	v_add_f32_e32 v3, 0x244df0c1, v8
	v_fma_f32 v7, v1, v3, -v7
	v_add_f32_e32 v7, 0x241f9ee8, v7
	v_fma_f32 v3, v1, v7, -v3
	;; [unrolled: 2-line block ×22, first 2 shown]
	v_add_u32_e32 v7, 1, v13
	v_add_f32_e32 v1, 0x3f4df315, v1
	v_cmp_ge_f32_e64 s[4:5], 0, v15
	v_fma_f32 v8, -v7, v13, v2
	v_sub_f32_e32 v1, v1, v3
	v_cndmask_b32_e64 v3, v13, v14, s[4:5]
	v_cmp_lt_f32_e64 s[4:5], 0, v8
	v_cndmask_b32_e64 v3, v3, v7, s[4:5]
	v_mul_f32_e32 v7, 0x37800000, v3
	v_cndmask_b32_e32 v3, v3, v7, vcc
	v_mov_b32_e32 v7, 0x260
	v_mul_f32_e32 v1, 0.5, v1
	v_cmp_class_f32_e32 vcc, v2, v7
	v_mul_f32_e32 v1, v10, v1
	v_cndmask_b32_e32 v2, v3, v2, vcc
	v_div_scale_f32 v3, s[4:5], v2, v2, v1
	v_div_scale_f32 v7, vcc, v1, v2, v1
	v_rcp_f32_e32 v8, v3
	v_fma_f32 v10, -v3, v8, 1.0
	v_fmac_f32_e32 v8, v10, v8
	v_mul_f32_e32 v10, v7, v8
	v_fma_f32 v11, -v3, v10, v7
	v_fmac_f32_e32 v10, v11, v8
	v_fma_f32 v3, -v3, v10, v7
	v_div_fmas_f32 v3, v3, v8, v10
	v_div_fixup_f32 v7, v3, v2, v1
.LBB11_15:
	s_or_b64 exec, exec, s[14:15]
	s_mov_b32 s4, 0x41000000
	v_cmp_le_f32_e64 s[4:5], |v4|, s4
	s_and_saveexec_b64 s[14:15], s[4:5]
	s_xor_b64 s[4:5], exec, s[14:15]
	s_cbranch_execz .LBB11_17
; %bb.16:
	v_fma_f32 v1, |v4|, 0.5, -2.0
	v_mov_b32_e32 v2, 0x24199b15
	v_fmac_f32_e32 v2, 0xa2a2e5b9, v1
	v_mov_b32_e32 v3, 0x22a2e5b9
	v_fmac_f32_e32 v3, v1, v2
	v_add_f32_e32 v3, 0xa58c275c, v3
	v_fma_f32 v2, v1, v3, -v2
	v_add_f32_e32 v2, 0x26f736c5, v2
	v_fma_f32 v3, v1, v2, -v3
	v_add_f32_e32 v3, 0xa8528116, v3
	v_fma_f32 v2, v1, v3, -v2
	v_add_f32_e32 v2, 0x29acda32, v2
	v_fma_f32 v3, v1, v2, -v3
	v_add_f32_e32 v3, 0xab08b263, v3
	v_fma_f32 v2, v1, v3, -v2
	v_add_f32_e32 v2, 0x2c4ff17f, v2
	v_fma_f32 v3, v1, v2, -v3
	v_add_f32_e32 v3, 0xad97e4ac, v3
	v_fma_f32 v2, v1, v3, -v2
	v_add_f32_e32 v2, 0x2ed4c5f6, v2
	v_fma_f32 v3, v1, v2, -v3
	v_add_f32_e32 v3, 0xb00ea7f1, v3
	v_fma_f32 v2, v1, v3, -v2
	v_add_f32_e32 v2, 0x3136c81d, v2
	v_fma_f32 v3, v1, v2, -v3
	v_add_f32_e32 v3, 0xb25f57b4, v3
	v_fma_f32 v2, v1, v3, -v2
	v_add_f32_e32 v2, 0x3381dbb5, v2
	v_fma_f32 v3, v1, v2, -v3
	v_add_f32_e32 v3, 0xb48f631c, v3
	v_fma_f32 v2, v1, v3, -v2
	v_add_f32_e32 v2, 0x3595f925, v2
	v_fma_f32 v3, v1, v2, -v3
	v_add_f32_e32 v3, 0xb694337e, v3
	v_fma_f32 v2, v1, v3, -v2
	v_add_f32_e32 v2, 0x3789fac6, v2
	v_fma_f32 v3, v1, v2, -v3
	v_add_f32_e32 v3, 0xb8715933, v3
	v_fma_f32 v2, v1, v3, -v2
	v_add_f32_e32 v2, 0x3945a8dc, v2
	v_fma_f32 v3, v1, v2, -v3
	v_add_f32_e32 v3, 0xba1717e9, v3
	v_fma_f32 v2, v1, v3, -v2
	v_add_f32_e32 v2, 0x3ad6e3ac, v2
	v_fma_f32 v3, v1, v2, -v3
	v_add_f32_e32 v3, 0xbb8db2f1, v3
	v_fma_f32 v2, v1, v3, -v2
	v_add_f32_e32 v2, 0x3c2ccb10, v2
	v_fma_f32 v3, v1, v2, -v3
	v_add_f32_e32 v3, 0xbcc274f8, v3
	s_mov_b32 s14, 0x3fb8aa3b
	v_fma_f32 v2, v1, v3, -v2
	v_mul_f32_e64 v8, |v4|, s14
	v_add_f32_e32 v2, 0x3d49f456, v2
	v_rndne_f32_e32 v10, v8
	v_fma_f32 v3, v1, v2, -v3
	v_sub_f32_e32 v11, v8, v10
	v_fma_f32 v8, |v4|, s14, -v8
	s_mov_b32 s14, 0x32a5705f
	v_add_f32_e32 v3, 0xbdc25b82, v3
	v_fma_f32 v8, |v4|, s14, v8
	v_fma_f32 v2, v1, v3, -v2
	v_add_f32_e32 v8, v11, v8
	v_add_f32_e32 v2, 0x3e2fbd64, v2
	v_exp_f32_e32 v8, v8
	v_cvt_i32_f32_e32 v10, v10
	v_fma_f32 v3, v1, v2, -v3
	v_add_f32_e32 v3, 0xbe9bff5e, v3
	v_fma_f32 v1, v1, v3, -v2
	s_mov_b32 s14, 0xc2ce8ed0
	v_add_f32_e32 v1, 0x3f2d4275, v1
	v_ldexp_f32 v3, v8, v10
	v_cmp_nlt_f32_e64 vcc, |v4|, s14
	s_mov_b32 s14, 0x42b17218
	v_cndmask_b32_e32 v3, 0, v3, vcc
	v_mov_b32_e32 v8, 0x7f800000
	v_cmp_ngt_f32_e64 vcc, |v4|, s14
	v_sub_f32_e32 v1, v1, v2
	v_cndmask_b32_e32 v3, v8, v3, vcc
	v_mul_f32_e32 v1, 0.5, v1
	v_mul_f32_e32 v8, v3, v1
                                        ; implicit-def: $vgpr1_vgpr2_vgpr3_vgpr4
.LBB11_17:
	s_andn2_saveexec_b64 s[14:15], s[4:5]
	s_cbranch_execz .LBB11_19
; %bb.18:
	v_and_b32_e32 v1, 0x7fffffff, v4
	s_mov_b32 s16, 0x42000000
	v_div_scale_f32 v2, s[4:5], v1, v1, s16
	v_div_scale_f32 v1, vcc, s16, v1, s16
	s_mov_b32 s4, 0x3fb8aa3b
	v_mul_f32_e64 v10, |v4|, s4
	s_mov_b32 s5, 0x32a5705f
	v_rndne_f32_e32 v13, v10
	v_fma_f32 v14, |v4|, s4, -v10
	s_mov_b32 s19, 0xf800000
	s_mov_b32 s20, 0x4f800000
	v_sub_f32_e32 v10, v10, v13
	v_mul_f32_e64 v12, |v4|, s20
	v_mov_b32_e32 v3, 0xa2b236d3
	v_mov_b32_e32 v8, 0x23056dbb
	s_mov_b32 s17, 0xc2ce8ed0
	v_rcp_f32_e32 v11, v2
	s_mov_b32 s18, 0x42b17218
	v_fma_f32 v15, -v2, v11, 1.0
	v_fmac_f32_e32 v11, v15, v11
	v_mul_f32_e32 v15, v1, v11
	v_fma_f32 v16, -v2, v15, v1
	v_fmac_f32_e32 v15, v16, v11
	v_fma_f32 v1, -v2, v15, v1
	v_div_fmas_f32 v1, v1, v11, v15
	v_fma_f32 v11, |v4|, s5, v14
	v_cmp_lt_f32_e64 vcc, |v4|, s19
	v_add_f32_e32 v10, v10, v11
	v_cndmask_b32_e64 v2, |v4|, v12, vcc
	v_cvt_i32_f32_e32 v12, v13
	v_exp_f32_e32 v10, v10
	v_cmp_nlt_f32_e64 s[4:5], |v4|, s17
	v_sqrt_f32_e32 v13, v2
	v_mov_b32_e32 v11, 0x7f800000
	v_ldexp_f32 v10, v10, v12
	v_cndmask_b32_e64 v10, 0, v10, s[4:5]
	v_cmp_ngt_f32_e64 s[4:5], |v4|, s18
	v_add_u32_e32 v14, -1, v13
	v_fma_f32 v15, -v14, v13, v2
	v_cndmask_b32_e64 v10, v11, v10, s[4:5]
	v_div_fixup_f32 v1, v1, |v4|, s16
	v_add_f32_e32 v1, -2.0, v1
	v_fmac_f32_e32 v3, 0xa3056dbb, v1
	v_fmac_f32_e32 v8, v1, v3
	v_add_f32_e32 v4, 0x244df0c1, v8
	v_fma_f32 v3, v1, v4, -v3
	v_add_f32_e32 v3, 0x241f9ee8, v3
	v_fma_f32 v4, v1, v3, -v4
	;; [unrolled: 2-line block ×22, first 2 shown]
	v_add_f32_e32 v1, 0x3f4df315, v1
	v_sub_f32_e32 v1, v1, v4
	v_add_u32_e32 v4, 1, v13
	v_cmp_ge_f32_e64 s[4:5], 0, v15
	v_fma_f32 v8, -v4, v13, v2
	v_cndmask_b32_e64 v3, v13, v14, s[4:5]
	v_cmp_lt_f32_e64 s[4:5], 0, v8
	v_cndmask_b32_e64 v3, v3, v4, s[4:5]
	v_mul_f32_e32 v4, 0x37800000, v3
	v_cndmask_b32_e32 v3, v3, v4, vcc
	v_mov_b32_e32 v4, 0x260
	v_mul_f32_e32 v1, 0.5, v1
	v_cmp_class_f32_e32 vcc, v2, v4
	v_mul_f32_e32 v1, v10, v1
	v_cndmask_b32_e32 v2, v3, v2, vcc
	v_div_scale_f32 v3, s[4:5], v2, v2, v1
	v_div_scale_f32 v4, vcc, v1, v2, v1
	v_rcp_f32_e32 v8, v3
	v_fma_f32 v10, -v3, v8, 1.0
	v_fmac_f32_e32 v8, v10, v8
	v_mul_f32_e32 v10, v4, v8
	v_fma_f32 v11, -v3, v10, v4
	v_fmac_f32_e32 v10, v11, v8
	v_fma_f32 v3, -v3, v10, v4
	v_div_fmas_f32 v3, v3, v8, v10
	v_div_fixup_f32 v8, v3, v2, v1
.LBB11_19:
	s_or_b64 exec, exec, s[14:15]
	s_add_u32 s4, s8, s12
	s_addc_u32 s5, s9, s13
	global_store_dwordx4 v9, v[5:8], s[4:5]
	s_branch .LBB11_2
.LBB11_20:
	s_getpc_b64 s[4:5]
	s_add_u32 s4, s4, _ZN2at6native25elementwise_kernel_helperILb0EZZZNS0_12_GLOBAL__N_130modified_bessel_i0_kernel_cudaERNS_18TensorIteratorBaseEENKUlvE_clEvENKUlvE0_clEvEUlfE_NS0_6memory8policies11unroll_baseILi256ESt5arrayIPcLm2EE23TrivialOffsetCalculatorILi1EjESF_NS8_15LoadWithoutCastENS8_16StoreWithoutCastELi4ELi1EEEEEvT0_T1_@rel32@lo+4
	s_addc_u32 s5, s5, _ZN2at6native25elementwise_kernel_helperILb0EZZZNS0_12_GLOBAL__N_130modified_bessel_i0_kernel_cudaERNS_18TensorIteratorBaseEENKUlvE_clEvENKUlvE0_clEvEUlfE_NS0_6memory8policies11unroll_baseILi256ESt5arrayIPcLm2EE23TrivialOffsetCalculatorILi1EjESF_NS8_15LoadWithoutCastENS8_16StoreWithoutCastELi4ELi1EEEEEvT0_T1_@rel32@hi+12
	s_mov_b32 s12, s6
	v_mov_b32_e32 v31, v0
	v_mov_b32_e32 v0, s8
	;; [unrolled: 1-line block ×6, first 2 shown]
	s_swappc_b64 s[30:31], s[4:5]
	s_endpgm
	.section	.rodata,"a",@progbits
	.p2align	6, 0x0
	.amdhsa_kernel _ZN2at6native29vectorized_elementwise_kernelILi16EZZZNS0_12_GLOBAL__N_130modified_bessel_i0_kernel_cudaERNS_18TensorIteratorBaseEENKUlvE_clEvENKUlvE0_clEvEUlfE_St5arrayIPcLm2EEEEviT0_T1_
		.amdhsa_group_segment_fixed_size 0
		.amdhsa_private_segment_fixed_size 0
		.amdhsa_kernarg_size 24
		.amdhsa_user_sgpr_count 6
		.amdhsa_user_sgpr_private_segment_buffer 1
		.amdhsa_user_sgpr_dispatch_ptr 0
		.amdhsa_user_sgpr_queue_ptr 0
		.amdhsa_user_sgpr_kernarg_segment_ptr 1
		.amdhsa_user_sgpr_dispatch_id 0
		.amdhsa_user_sgpr_flat_scratch_init 0
		.amdhsa_user_sgpr_private_segment_size 0
		.amdhsa_uses_dynamic_stack 0
		.amdhsa_system_sgpr_private_segment_wavefront_offset 0
		.amdhsa_system_sgpr_workgroup_id_x 1
		.amdhsa_system_sgpr_workgroup_id_y 0
		.amdhsa_system_sgpr_workgroup_id_z 0
		.amdhsa_system_sgpr_workgroup_info 0
		.amdhsa_system_vgpr_workitem_id 0
		.amdhsa_next_free_vgpr 32
		.amdhsa_next_free_sgpr 33
		.amdhsa_reserve_vcc 1
		.amdhsa_reserve_flat_scratch 0
		.amdhsa_float_round_mode_32 0
		.amdhsa_float_round_mode_16_64 0
		.amdhsa_float_denorm_mode_32 3
		.amdhsa_float_denorm_mode_16_64 3
		.amdhsa_dx10_clamp 1
		.amdhsa_ieee_mode 1
		.amdhsa_fp16_overflow 0
		.amdhsa_exception_fp_ieee_invalid_op 0
		.amdhsa_exception_fp_denorm_src 0
		.amdhsa_exception_fp_ieee_div_zero 0
		.amdhsa_exception_fp_ieee_overflow 0
		.amdhsa_exception_fp_ieee_underflow 0
		.amdhsa_exception_fp_ieee_inexact 0
		.amdhsa_exception_int_div_zero 0
	.end_amdhsa_kernel
	.section	.text._ZN2at6native29vectorized_elementwise_kernelILi16EZZZNS0_12_GLOBAL__N_130modified_bessel_i0_kernel_cudaERNS_18TensorIteratorBaseEENKUlvE_clEvENKUlvE0_clEvEUlfE_St5arrayIPcLm2EEEEviT0_T1_,"axG",@progbits,_ZN2at6native29vectorized_elementwise_kernelILi16EZZZNS0_12_GLOBAL__N_130modified_bessel_i0_kernel_cudaERNS_18TensorIteratorBaseEENKUlvE_clEvENKUlvE0_clEvEUlfE_St5arrayIPcLm2EEEEviT0_T1_,comdat
.Lfunc_end11:
	.size	_ZN2at6native29vectorized_elementwise_kernelILi16EZZZNS0_12_GLOBAL__N_130modified_bessel_i0_kernel_cudaERNS_18TensorIteratorBaseEENKUlvE_clEvENKUlvE0_clEvEUlfE_St5arrayIPcLm2EEEEviT0_T1_, .Lfunc_end11-_ZN2at6native29vectorized_elementwise_kernelILi16EZZZNS0_12_GLOBAL__N_130modified_bessel_i0_kernel_cudaERNS_18TensorIteratorBaseEENKUlvE_clEvENKUlvE0_clEvEUlfE_St5arrayIPcLm2EEEEviT0_T1_
                                        ; -- End function
	.set _ZN2at6native29vectorized_elementwise_kernelILi16EZZZNS0_12_GLOBAL__N_130modified_bessel_i0_kernel_cudaERNS_18TensorIteratorBaseEENKUlvE_clEvENKUlvE0_clEvEUlfE_St5arrayIPcLm2EEEEviT0_T1_.num_vgpr, max(32, .L_ZN2at6native25elementwise_kernel_helperILb0EZZZNS0_12_GLOBAL__N_130modified_bessel_i0_kernel_cudaERNS_18TensorIteratorBaseEENKUlvE_clEvENKUlvE0_clEvEUlfE_NS0_6memory8policies11unroll_baseILi256ESt5arrayIPcLm2EE23TrivialOffsetCalculatorILi1EjESF_NS8_15LoadWithoutCastENS8_16StoreWithoutCastELi4ELi1EEEEEvT0_T1_.num_vgpr)
	.set _ZN2at6native29vectorized_elementwise_kernelILi16EZZZNS0_12_GLOBAL__N_130modified_bessel_i0_kernel_cudaERNS_18TensorIteratorBaseEENKUlvE_clEvENKUlvE0_clEvEUlfE_St5arrayIPcLm2EEEEviT0_T1_.num_agpr, max(0, .L_ZN2at6native25elementwise_kernel_helperILb0EZZZNS0_12_GLOBAL__N_130modified_bessel_i0_kernel_cudaERNS_18TensorIteratorBaseEENKUlvE_clEvENKUlvE0_clEvEUlfE_NS0_6memory8policies11unroll_baseILi256ESt5arrayIPcLm2EE23TrivialOffsetCalculatorILi1EjESF_NS8_15LoadWithoutCastENS8_16StoreWithoutCastELi4ELi1EEEEEvT0_T1_.num_agpr)
	.set _ZN2at6native29vectorized_elementwise_kernelILi16EZZZNS0_12_GLOBAL__N_130modified_bessel_i0_kernel_cudaERNS_18TensorIteratorBaseEENKUlvE_clEvENKUlvE0_clEvEUlfE_St5arrayIPcLm2EEEEviT0_T1_.numbered_sgpr, max(33, .L_ZN2at6native25elementwise_kernel_helperILb0EZZZNS0_12_GLOBAL__N_130modified_bessel_i0_kernel_cudaERNS_18TensorIteratorBaseEENKUlvE_clEvENKUlvE0_clEvEUlfE_NS0_6memory8policies11unroll_baseILi256ESt5arrayIPcLm2EE23TrivialOffsetCalculatorILi1EjESF_NS8_15LoadWithoutCastENS8_16StoreWithoutCastELi4ELi1EEEEEvT0_T1_.numbered_sgpr)
	.set _ZN2at6native29vectorized_elementwise_kernelILi16EZZZNS0_12_GLOBAL__N_130modified_bessel_i0_kernel_cudaERNS_18TensorIteratorBaseEENKUlvE_clEvENKUlvE0_clEvEUlfE_St5arrayIPcLm2EEEEviT0_T1_.num_named_barrier, max(0, .L_ZN2at6native25elementwise_kernel_helperILb0EZZZNS0_12_GLOBAL__N_130modified_bessel_i0_kernel_cudaERNS_18TensorIteratorBaseEENKUlvE_clEvENKUlvE0_clEvEUlfE_NS0_6memory8policies11unroll_baseILi256ESt5arrayIPcLm2EE23TrivialOffsetCalculatorILi1EjESF_NS8_15LoadWithoutCastENS8_16StoreWithoutCastELi4ELi1EEEEEvT0_T1_.num_named_barrier)
	.set _ZN2at6native29vectorized_elementwise_kernelILi16EZZZNS0_12_GLOBAL__N_130modified_bessel_i0_kernel_cudaERNS_18TensorIteratorBaseEENKUlvE_clEvENKUlvE0_clEvEUlfE_St5arrayIPcLm2EEEEviT0_T1_.private_seg_size, 0+max(.L_ZN2at6native25elementwise_kernel_helperILb0EZZZNS0_12_GLOBAL__N_130modified_bessel_i0_kernel_cudaERNS_18TensorIteratorBaseEENKUlvE_clEvENKUlvE0_clEvEUlfE_NS0_6memory8policies11unroll_baseILi256ESt5arrayIPcLm2EE23TrivialOffsetCalculatorILi1EjESF_NS8_15LoadWithoutCastENS8_16StoreWithoutCastELi4ELi1EEEEEvT0_T1_.private_seg_size)
	.set _ZN2at6native29vectorized_elementwise_kernelILi16EZZZNS0_12_GLOBAL__N_130modified_bessel_i0_kernel_cudaERNS_18TensorIteratorBaseEENKUlvE_clEvENKUlvE0_clEvEUlfE_St5arrayIPcLm2EEEEviT0_T1_.uses_vcc, or(1, .L_ZN2at6native25elementwise_kernel_helperILb0EZZZNS0_12_GLOBAL__N_130modified_bessel_i0_kernel_cudaERNS_18TensorIteratorBaseEENKUlvE_clEvENKUlvE0_clEvEUlfE_NS0_6memory8policies11unroll_baseILi256ESt5arrayIPcLm2EE23TrivialOffsetCalculatorILi1EjESF_NS8_15LoadWithoutCastENS8_16StoreWithoutCastELi4ELi1EEEEEvT0_T1_.uses_vcc)
	.set _ZN2at6native29vectorized_elementwise_kernelILi16EZZZNS0_12_GLOBAL__N_130modified_bessel_i0_kernel_cudaERNS_18TensorIteratorBaseEENKUlvE_clEvENKUlvE0_clEvEUlfE_St5arrayIPcLm2EEEEviT0_T1_.uses_flat_scratch, or(0, .L_ZN2at6native25elementwise_kernel_helperILb0EZZZNS0_12_GLOBAL__N_130modified_bessel_i0_kernel_cudaERNS_18TensorIteratorBaseEENKUlvE_clEvENKUlvE0_clEvEUlfE_NS0_6memory8policies11unroll_baseILi256ESt5arrayIPcLm2EE23TrivialOffsetCalculatorILi1EjESF_NS8_15LoadWithoutCastENS8_16StoreWithoutCastELi4ELi1EEEEEvT0_T1_.uses_flat_scratch)
	.set _ZN2at6native29vectorized_elementwise_kernelILi16EZZZNS0_12_GLOBAL__N_130modified_bessel_i0_kernel_cudaERNS_18TensorIteratorBaseEENKUlvE_clEvENKUlvE0_clEvEUlfE_St5arrayIPcLm2EEEEviT0_T1_.has_dyn_sized_stack, or(0, .L_ZN2at6native25elementwise_kernel_helperILb0EZZZNS0_12_GLOBAL__N_130modified_bessel_i0_kernel_cudaERNS_18TensorIteratorBaseEENKUlvE_clEvENKUlvE0_clEvEUlfE_NS0_6memory8policies11unroll_baseILi256ESt5arrayIPcLm2EE23TrivialOffsetCalculatorILi1EjESF_NS8_15LoadWithoutCastENS8_16StoreWithoutCastELi4ELi1EEEEEvT0_T1_.has_dyn_sized_stack)
	.set _ZN2at6native29vectorized_elementwise_kernelILi16EZZZNS0_12_GLOBAL__N_130modified_bessel_i0_kernel_cudaERNS_18TensorIteratorBaseEENKUlvE_clEvENKUlvE0_clEvEUlfE_St5arrayIPcLm2EEEEviT0_T1_.has_recursion, or(0, .L_ZN2at6native25elementwise_kernel_helperILb0EZZZNS0_12_GLOBAL__N_130modified_bessel_i0_kernel_cudaERNS_18TensorIteratorBaseEENKUlvE_clEvENKUlvE0_clEvEUlfE_NS0_6memory8policies11unroll_baseILi256ESt5arrayIPcLm2EE23TrivialOffsetCalculatorILi1EjESF_NS8_15LoadWithoutCastENS8_16StoreWithoutCastELi4ELi1EEEEEvT0_T1_.has_recursion)
	.set _ZN2at6native29vectorized_elementwise_kernelILi16EZZZNS0_12_GLOBAL__N_130modified_bessel_i0_kernel_cudaERNS_18TensorIteratorBaseEENKUlvE_clEvENKUlvE0_clEvEUlfE_St5arrayIPcLm2EEEEviT0_T1_.has_indirect_call, or(0, .L_ZN2at6native25elementwise_kernel_helperILb0EZZZNS0_12_GLOBAL__N_130modified_bessel_i0_kernel_cudaERNS_18TensorIteratorBaseEENKUlvE_clEvENKUlvE0_clEvEUlfE_NS0_6memory8policies11unroll_baseILi256ESt5arrayIPcLm2EE23TrivialOffsetCalculatorILi1EjESF_NS8_15LoadWithoutCastENS8_16StoreWithoutCastELi4ELi1EEEEEvT0_T1_.has_indirect_call)
	.section	.AMDGPU.csdata,"",@progbits
; Kernel info:
; codeLenInByte = 6012
; TotalNumSgprs: 37
; NumVgprs: 32
; ScratchSize: 0
; MemoryBound: 0
; FloatMode: 240
; IeeeMode: 1
; LDSByteSize: 0 bytes/workgroup (compile time only)
; SGPRBlocks: 4
; VGPRBlocks: 7
; NumSGPRsForWavesPerEU: 37
; NumVGPRsForWavesPerEU: 32
; Occupancy: 8
; WaveLimiterHint : 0
; COMPUTE_PGM_RSRC2:SCRATCH_EN: 0
; COMPUTE_PGM_RSRC2:USER_SGPR: 6
; COMPUTE_PGM_RSRC2:TRAP_HANDLER: 0
; COMPUTE_PGM_RSRC2:TGID_X_EN: 1
; COMPUTE_PGM_RSRC2:TGID_Y_EN: 0
; COMPUTE_PGM_RSRC2:TGID_Z_EN: 0
; COMPUTE_PGM_RSRC2:TIDIG_COMP_CNT: 0
	.section	.text._ZN2at6native29vectorized_elementwise_kernelILi8EZZZNS0_12_GLOBAL__N_130modified_bessel_i0_kernel_cudaERNS_18TensorIteratorBaseEENKUlvE_clEvENKUlvE0_clEvEUlfE_St5arrayIPcLm2EEEEviT0_T1_,"axG",@progbits,_ZN2at6native29vectorized_elementwise_kernelILi8EZZZNS0_12_GLOBAL__N_130modified_bessel_i0_kernel_cudaERNS_18TensorIteratorBaseEENKUlvE_clEvENKUlvE0_clEvEUlfE_St5arrayIPcLm2EEEEviT0_T1_,comdat
	.globl	_ZN2at6native29vectorized_elementwise_kernelILi8EZZZNS0_12_GLOBAL__N_130modified_bessel_i0_kernel_cudaERNS_18TensorIteratorBaseEENKUlvE_clEvENKUlvE0_clEvEUlfE_St5arrayIPcLm2EEEEviT0_T1_ ; -- Begin function _ZN2at6native29vectorized_elementwise_kernelILi8EZZZNS0_12_GLOBAL__N_130modified_bessel_i0_kernel_cudaERNS_18TensorIteratorBaseEENKUlvE_clEvENKUlvE0_clEvEUlfE_St5arrayIPcLm2EEEEviT0_T1_
	.p2align	8
	.type	_ZN2at6native29vectorized_elementwise_kernelILi8EZZZNS0_12_GLOBAL__N_130modified_bessel_i0_kernel_cudaERNS_18TensorIteratorBaseEENKUlvE_clEvENKUlvE0_clEvEUlfE_St5arrayIPcLm2EEEEviT0_T1_,@function
_ZN2at6native29vectorized_elementwise_kernelILi8EZZZNS0_12_GLOBAL__N_130modified_bessel_i0_kernel_cudaERNS_18TensorIteratorBaseEENKUlvE_clEvENKUlvE0_clEvEUlfE_St5arrayIPcLm2EEEEviT0_T1_: ; @_ZN2at6native29vectorized_elementwise_kernelILi8EZZZNS0_12_GLOBAL__N_130modified_bessel_i0_kernel_cudaERNS_18TensorIteratorBaseEENKUlvE_clEvENKUlvE0_clEvEUlfE_St5arrayIPcLm2EEEEviT0_T1_
; %bb.0:
	s_add_u32 s0, s0, s7
	s_load_dword s7, s[4:5], 0x0
	s_load_dwordx4 s[8:11], s[4:5], 0x8
	s_addc_u32 s1, s1, 0
	s_lshl_b32 s4, s6, 10
	s_mov_b64 s[12:13], -1
	s_waitcnt lgkmcnt(0)
	s_sub_i32 s7, s7, s4
	s_cmpk_gt_i32 s7, 0x3ff
	s_mov_b32 s32, 0
	s_cbranch_scc1 .LBB12_3
; %bb.1:
	s_and_b64 vcc, exec, s[12:13]
	s_cbranch_vccnz .LBB12_20
.LBB12_2:
	s_endpgm
.LBB12_3:
	s_ashr_i32 s5, s4, 31
	s_lshl_b64 s[12:13], s[4:5], 2
	s_add_u32 s4, s10, s12
	s_addc_u32 s5, s11, s13
	v_lshlrev_b32_e32 v9, 4, v0
	global_load_dwordx4 v[1:4], v9, s[4:5]
	s_mov_b32 s4, 0x41000000
                                        ; implicit-def: $vgpr5
	s_waitcnt vmcnt(0)
	v_cmp_le_f32_e64 s[4:5], |v1|, s4
	s_and_saveexec_b64 s[14:15], s[4:5]
	s_xor_b64 s[4:5], exec, s[14:15]
	s_cbranch_execz .LBB12_5
; %bb.4:
	v_fma_f32 v5, |v1|, 0.5, -2.0
	v_mov_b32_e32 v6, 0x24199b15
	v_fmac_f32_e32 v6, 0xa2a2e5b9, v5
	v_mov_b32_e32 v7, 0x22a2e5b9
	v_fmac_f32_e32 v7, v5, v6
	v_add_f32_e32 v7, 0xa58c275c, v7
	v_fma_f32 v6, v5, v7, -v6
	v_add_f32_e32 v6, 0x26f736c5, v6
	v_fma_f32 v7, v5, v6, -v7
	;; [unrolled: 2-line block ×22, first 2 shown]
	v_add_f32_e32 v7, 0xbcc274f8, v7
	s_mov_b32 s14, 0x3fb8aa3b
	v_fma_f32 v6, v5, v7, -v6
	v_mul_f32_e64 v8, |v1|, s14
	v_add_f32_e32 v6, 0x3d49f456, v6
	v_rndne_f32_e32 v10, v8
	v_fma_f32 v7, v5, v6, -v7
	v_sub_f32_e32 v11, v8, v10
	v_fma_f32 v8, |v1|, s14, -v8
	s_mov_b32 s14, 0x32a5705f
	v_add_f32_e32 v7, 0xbdc25b82, v7
	v_fma_f32 v8, |v1|, s14, v8
	v_fma_f32 v6, v5, v7, -v6
	v_add_f32_e32 v8, v11, v8
	v_add_f32_e32 v6, 0x3e2fbd64, v6
	v_exp_f32_e32 v8, v8
	v_cvt_i32_f32_e32 v10, v10
	v_fma_f32 v7, v5, v6, -v7
	v_add_f32_e32 v7, 0xbe9bff5e, v7
	v_fma_f32 v5, v5, v7, -v6
	s_mov_b32 s14, 0xc2ce8ed0
	v_add_f32_e32 v5, 0x3f2d4275, v5
	v_ldexp_f32 v7, v8, v10
	v_cmp_nlt_f32_e64 vcc, |v1|, s14
	s_mov_b32 s14, 0x42b17218
	v_cndmask_b32_e32 v7, 0, v7, vcc
	v_mov_b32_e32 v8, 0x7f800000
	v_cmp_ngt_f32_e64 vcc, |v1|, s14
	v_sub_f32_e32 v5, v5, v6
	v_cndmask_b32_e32 v7, v8, v7, vcc
	v_mul_f32_e32 v5, 0.5, v5
	v_mul_f32_e32 v5, v7, v5
.LBB12_5:
	s_andn2_saveexec_b64 s[14:15], s[4:5]
	s_cbranch_execz .LBB12_7
; %bb.6:
	v_and_b32_e32 v5, 0x7fffffff, v1
	s_mov_b32 s16, 0x42000000
	v_div_scale_f32 v6, s[4:5], v5, v5, s16
	v_div_scale_f32 v5, vcc, s16, v5, s16
	s_mov_b32 s4, 0x3fb8aa3b
	v_mul_f32_e64 v10, |v1|, s4
	s_mov_b32 s5, 0x32a5705f
	v_rndne_f32_e32 v13, v10
	v_fma_f32 v14, |v1|, s4, -v10
	s_mov_b32 s19, 0xf800000
	s_mov_b32 s20, 0x4f800000
	v_sub_f32_e32 v10, v10, v13
	v_mul_f32_e64 v12, |v1|, s20
	s_mov_b32 s17, 0xc2ce8ed0
	s_mov_b32 s18, 0x42b17218
	v_mov_b32_e32 v7, 0xa2b236d3
	v_rcp_f32_e32 v11, v6
	v_mov_b32_e32 v8, 0x23056dbb
	v_fma_f32 v15, -v6, v11, 1.0
	v_fmac_f32_e32 v11, v15, v11
	v_mul_f32_e32 v15, v5, v11
	v_fma_f32 v16, -v6, v15, v5
	v_fmac_f32_e32 v15, v16, v11
	v_fma_f32 v5, -v6, v15, v5
	v_div_fmas_f32 v5, v5, v11, v15
	v_fma_f32 v11, |v1|, s5, v14
	v_cmp_lt_f32_e64 vcc, |v1|, s19
	v_add_f32_e32 v10, v10, v11
	v_cndmask_b32_e64 v6, |v1|, v12, vcc
	v_cvt_i32_f32_e32 v12, v13
	v_exp_f32_e32 v10, v10
	v_cmp_nlt_f32_e64 s[4:5], |v1|, s17
	v_sqrt_f32_e32 v13, v6
	v_mov_b32_e32 v11, 0x7f800000
	v_ldexp_f32 v10, v10, v12
	v_cndmask_b32_e64 v10, 0, v10, s[4:5]
	v_cmp_ngt_f32_e64 s[4:5], |v1|, s18
	v_add_u32_e32 v14, -1, v13
	v_fma_f32 v15, -v14, v13, v6
	v_cndmask_b32_e64 v10, v11, v10, s[4:5]
	v_div_fixup_f32 v1, v5, |v1|, s16
	v_add_f32_e32 v1, -2.0, v1
	v_fmac_f32_e32 v7, 0xa3056dbb, v1
	v_fmac_f32_e32 v8, v1, v7
	v_add_f32_e32 v5, 0x244df0c1, v8
	v_fma_f32 v7, v1, v5, -v7
	v_add_f32_e32 v7, 0x241f9ee8, v7
	v_fma_f32 v5, v1, v7, -v5
	;; [unrolled: 2-line block ×22, first 2 shown]
	v_add_u32_e32 v7, 1, v13
	v_add_f32_e32 v1, 0x3f4df315, v1
	v_cmp_ge_f32_e64 s[4:5], 0, v15
	v_fma_f32 v8, -v7, v13, v6
	v_sub_f32_e32 v1, v1, v5
	v_cndmask_b32_e64 v5, v13, v14, s[4:5]
	v_cmp_lt_f32_e64 s[4:5], 0, v8
	v_cndmask_b32_e64 v5, v5, v7, s[4:5]
	v_mul_f32_e32 v7, 0x37800000, v5
	v_cndmask_b32_e32 v5, v5, v7, vcc
	v_mov_b32_e32 v7, 0x260
	v_mul_f32_e32 v1, 0.5, v1
	v_cmp_class_f32_e32 vcc, v6, v7
	v_mul_f32_e32 v1, v10, v1
	v_cndmask_b32_e32 v5, v5, v6, vcc
	v_div_scale_f32 v6, s[4:5], v5, v5, v1
	v_div_scale_f32 v7, vcc, v1, v5, v1
	v_rcp_f32_e32 v8, v6
	v_fma_f32 v10, -v6, v8, 1.0
	v_fmac_f32_e32 v8, v10, v8
	v_mul_f32_e32 v10, v7, v8
	v_fma_f32 v11, -v6, v10, v7
	v_fmac_f32_e32 v10, v11, v8
	v_fma_f32 v6, -v6, v10, v7
	v_div_fmas_f32 v6, v6, v8, v10
	v_div_fixup_f32 v5, v6, v5, v1
.LBB12_7:
	s_or_b64 exec, exec, s[14:15]
	s_mov_b32 s4, 0x41000000
	v_cmp_le_f32_e64 s[4:5], |v2|, s4
	s_and_saveexec_b64 s[14:15], s[4:5]
	s_xor_b64 s[4:5], exec, s[14:15]
	s_cbranch_execz .LBB12_9
; %bb.8:
	v_fma_f32 v1, |v2|, 0.5, -2.0
	v_mov_b32_e32 v6, 0x24199b15
	v_fmac_f32_e32 v6, 0xa2a2e5b9, v1
	v_mov_b32_e32 v7, 0x22a2e5b9
	v_fmac_f32_e32 v7, v1, v6
	v_add_f32_e32 v7, 0xa58c275c, v7
	v_fma_f32 v6, v1, v7, -v6
	v_add_f32_e32 v6, 0x26f736c5, v6
	v_fma_f32 v7, v1, v6, -v7
	;; [unrolled: 2-line block ×22, first 2 shown]
	v_add_f32_e32 v7, 0xbcc274f8, v7
	s_mov_b32 s14, 0x3fb8aa3b
	v_fma_f32 v6, v1, v7, -v6
	v_mul_f32_e64 v8, |v2|, s14
	v_add_f32_e32 v6, 0x3d49f456, v6
	v_rndne_f32_e32 v10, v8
	v_fma_f32 v7, v1, v6, -v7
	v_sub_f32_e32 v11, v8, v10
	v_fma_f32 v8, |v2|, s14, -v8
	s_mov_b32 s14, 0x32a5705f
	v_add_f32_e32 v7, 0xbdc25b82, v7
	v_fma_f32 v8, |v2|, s14, v8
	v_fma_f32 v6, v1, v7, -v6
	v_add_f32_e32 v8, v11, v8
	v_add_f32_e32 v6, 0x3e2fbd64, v6
	v_exp_f32_e32 v8, v8
	v_cvt_i32_f32_e32 v10, v10
	v_fma_f32 v7, v1, v6, -v7
	v_add_f32_e32 v7, 0xbe9bff5e, v7
	v_fma_f32 v1, v1, v7, -v6
	s_mov_b32 s14, 0xc2ce8ed0
	v_add_f32_e32 v1, 0x3f2d4275, v1
	v_ldexp_f32 v7, v8, v10
	v_cmp_nlt_f32_e64 vcc, |v2|, s14
	s_mov_b32 s14, 0x42b17218
	v_cndmask_b32_e32 v7, 0, v7, vcc
	v_mov_b32_e32 v8, 0x7f800000
	v_cmp_ngt_f32_e64 vcc, |v2|, s14
	v_sub_f32_e32 v1, v1, v6
	v_cndmask_b32_e32 v7, v8, v7, vcc
	v_mul_f32_e32 v1, 0.5, v1
	v_mul_f32_e32 v6, v7, v1
.LBB12_9:
	s_andn2_saveexec_b64 s[14:15], s[4:5]
	s_cbranch_execz .LBB12_11
; %bb.10:
	v_and_b32_e32 v1, 0x7fffffff, v2
	s_mov_b32 s16, 0x42000000
	v_div_scale_f32 v6, s[4:5], v1, v1, s16
	v_div_scale_f32 v1, vcc, s16, v1, s16
	s_mov_b32 s4, 0x3fb8aa3b
	v_mul_f32_e64 v10, |v2|, s4
	s_mov_b32 s5, 0x32a5705f
	v_rndne_f32_e32 v13, v10
	v_fma_f32 v14, |v2|, s4, -v10
	s_mov_b32 s19, 0xf800000
	s_mov_b32 s20, 0x4f800000
	v_sub_f32_e32 v10, v10, v13
	v_mul_f32_e64 v12, |v2|, s20
	v_mov_b32_e32 v7, 0xa2b236d3
	v_mov_b32_e32 v8, 0x23056dbb
	s_mov_b32 s17, 0xc2ce8ed0
	v_rcp_f32_e32 v11, v6
	s_mov_b32 s18, 0x42b17218
	v_fma_f32 v15, -v6, v11, 1.0
	v_fmac_f32_e32 v11, v15, v11
	v_mul_f32_e32 v15, v1, v11
	v_fma_f32 v16, -v6, v15, v1
	v_fmac_f32_e32 v15, v16, v11
	v_fma_f32 v1, -v6, v15, v1
	v_div_fmas_f32 v1, v1, v11, v15
	v_fma_f32 v11, |v2|, s5, v14
	v_cmp_lt_f32_e64 vcc, |v2|, s19
	v_add_f32_e32 v10, v10, v11
	v_cndmask_b32_e64 v6, |v2|, v12, vcc
	v_cvt_i32_f32_e32 v12, v13
	v_exp_f32_e32 v10, v10
	v_cmp_nlt_f32_e64 s[4:5], |v2|, s17
	v_sqrt_f32_e32 v13, v6
	v_mov_b32_e32 v11, 0x7f800000
	v_ldexp_f32 v10, v10, v12
	v_cndmask_b32_e64 v10, 0, v10, s[4:5]
	v_cmp_ngt_f32_e64 s[4:5], |v2|, s18
	v_add_u32_e32 v14, -1, v13
	v_fma_f32 v15, -v14, v13, v6
	v_cndmask_b32_e64 v10, v11, v10, s[4:5]
	v_div_fixup_f32 v1, v1, |v2|, s16
	v_add_f32_e32 v1, -2.0, v1
	v_fmac_f32_e32 v7, 0xa3056dbb, v1
	v_fmac_f32_e32 v8, v1, v7
	v_add_f32_e32 v2, 0x244df0c1, v8
	v_fma_f32 v7, v1, v2, -v7
	v_add_f32_e32 v7, 0x241f9ee8, v7
	v_fma_f32 v2, v1, v7, -v2
	;; [unrolled: 2-line block ×22, first 2 shown]
	v_add_u32_e32 v7, 1, v13
	v_add_f32_e32 v1, 0x3f4df315, v1
	v_cmp_ge_f32_e64 s[4:5], 0, v15
	v_fma_f32 v8, -v7, v13, v6
	v_sub_f32_e32 v1, v1, v2
	v_cndmask_b32_e64 v2, v13, v14, s[4:5]
	v_cmp_lt_f32_e64 s[4:5], 0, v8
	v_cndmask_b32_e64 v2, v2, v7, s[4:5]
	v_mul_f32_e32 v7, 0x37800000, v2
	v_cndmask_b32_e32 v2, v2, v7, vcc
	v_mov_b32_e32 v7, 0x260
	v_mul_f32_e32 v1, 0.5, v1
	v_cmp_class_f32_e32 vcc, v6, v7
	v_mul_f32_e32 v1, v10, v1
	v_cndmask_b32_e32 v2, v2, v6, vcc
	v_div_scale_f32 v6, s[4:5], v2, v2, v1
	v_div_scale_f32 v7, vcc, v1, v2, v1
	v_rcp_f32_e32 v8, v6
	v_fma_f32 v10, -v6, v8, 1.0
	v_fmac_f32_e32 v8, v10, v8
	v_mul_f32_e32 v10, v7, v8
	v_fma_f32 v11, -v6, v10, v7
	v_fmac_f32_e32 v10, v11, v8
	v_fma_f32 v6, -v6, v10, v7
	v_div_fmas_f32 v6, v6, v8, v10
	v_div_fixup_f32 v6, v6, v2, v1
.LBB12_11:
	s_or_b64 exec, exec, s[14:15]
	s_mov_b32 s4, 0x41000000
	v_cmp_le_f32_e64 s[4:5], |v3|, s4
	s_and_saveexec_b64 s[14:15], s[4:5]
	s_xor_b64 s[4:5], exec, s[14:15]
	s_cbranch_execz .LBB12_13
; %bb.12:
	v_fma_f32 v1, |v3|, 0.5, -2.0
	v_mov_b32_e32 v2, 0x24199b15
	v_fmac_f32_e32 v2, 0xa2a2e5b9, v1
	v_mov_b32_e32 v7, 0x22a2e5b9
	v_fmac_f32_e32 v7, v1, v2
	v_add_f32_e32 v7, 0xa58c275c, v7
	v_fma_f32 v2, v1, v7, -v2
	v_add_f32_e32 v2, 0x26f736c5, v2
	v_fma_f32 v7, v1, v2, -v7
	;; [unrolled: 2-line block ×22, first 2 shown]
	v_add_f32_e32 v7, 0xbcc274f8, v7
	s_mov_b32 s14, 0x3fb8aa3b
	v_fma_f32 v2, v1, v7, -v2
	v_mul_f32_e64 v8, |v3|, s14
	v_add_f32_e32 v2, 0x3d49f456, v2
	v_rndne_f32_e32 v10, v8
	v_fma_f32 v7, v1, v2, -v7
	v_sub_f32_e32 v11, v8, v10
	v_fma_f32 v8, |v3|, s14, -v8
	s_mov_b32 s14, 0x32a5705f
	v_add_f32_e32 v7, 0xbdc25b82, v7
	v_fma_f32 v8, |v3|, s14, v8
	v_fma_f32 v2, v1, v7, -v2
	v_add_f32_e32 v8, v11, v8
	v_add_f32_e32 v2, 0x3e2fbd64, v2
	v_exp_f32_e32 v8, v8
	v_cvt_i32_f32_e32 v10, v10
	v_fma_f32 v7, v1, v2, -v7
	v_add_f32_e32 v7, 0xbe9bff5e, v7
	v_fma_f32 v1, v1, v7, -v2
	s_mov_b32 s14, 0xc2ce8ed0
	v_add_f32_e32 v1, 0x3f2d4275, v1
	v_ldexp_f32 v7, v8, v10
	v_cmp_nlt_f32_e64 vcc, |v3|, s14
	s_mov_b32 s14, 0x42b17218
	v_cndmask_b32_e32 v7, 0, v7, vcc
	v_mov_b32_e32 v8, 0x7f800000
	v_cmp_ngt_f32_e64 vcc, |v3|, s14
	v_sub_f32_e32 v1, v1, v2
	v_cndmask_b32_e32 v7, v8, v7, vcc
	v_mul_f32_e32 v1, 0.5, v1
	v_mul_f32_e32 v7, v7, v1
.LBB12_13:
	s_andn2_saveexec_b64 s[14:15], s[4:5]
	s_cbranch_execz .LBB12_15
; %bb.14:
	v_and_b32_e32 v1, 0x7fffffff, v3
	s_mov_b32 s16, 0x42000000
	v_div_scale_f32 v2, s[4:5], v1, v1, s16
	v_div_scale_f32 v1, vcc, s16, v1, s16
	s_mov_b32 s4, 0x3fb8aa3b
	v_mul_f32_e64 v10, |v3|, s4
	s_mov_b32 s5, 0x32a5705f
	v_rndne_f32_e32 v13, v10
	v_fma_f32 v14, |v3|, s4, -v10
	s_mov_b32 s19, 0xf800000
	s_mov_b32 s20, 0x4f800000
	v_sub_f32_e32 v10, v10, v13
	v_mul_f32_e64 v12, |v3|, s20
	v_mov_b32_e32 v7, 0xa2b236d3
	v_mov_b32_e32 v8, 0x23056dbb
	s_mov_b32 s17, 0xc2ce8ed0
	v_rcp_f32_e32 v11, v2
	s_mov_b32 s18, 0x42b17218
	v_fma_f32 v15, -v2, v11, 1.0
	v_fmac_f32_e32 v11, v15, v11
	v_mul_f32_e32 v15, v1, v11
	v_fma_f32 v16, -v2, v15, v1
	v_fmac_f32_e32 v15, v16, v11
	v_fma_f32 v1, -v2, v15, v1
	v_div_fmas_f32 v1, v1, v11, v15
	v_fma_f32 v11, |v3|, s5, v14
	v_cmp_lt_f32_e64 vcc, |v3|, s19
	v_add_f32_e32 v10, v10, v11
	v_cndmask_b32_e64 v2, |v3|, v12, vcc
	v_cvt_i32_f32_e32 v12, v13
	v_exp_f32_e32 v10, v10
	v_cmp_nlt_f32_e64 s[4:5], |v3|, s17
	v_sqrt_f32_e32 v13, v2
	v_mov_b32_e32 v11, 0x7f800000
	v_ldexp_f32 v10, v10, v12
	v_cndmask_b32_e64 v10, 0, v10, s[4:5]
	v_cmp_ngt_f32_e64 s[4:5], |v3|, s18
	v_add_u32_e32 v14, -1, v13
	v_fma_f32 v15, -v14, v13, v2
	v_cndmask_b32_e64 v10, v11, v10, s[4:5]
	v_div_fixup_f32 v1, v1, |v3|, s16
	v_add_f32_e32 v1, -2.0, v1
	v_fmac_f32_e32 v7, 0xa3056dbb, v1
	v_fmac_f32_e32 v8, v1, v7
	v_add_f32_e32 v3, 0x244df0c1, v8
	v_fma_f32 v7, v1, v3, -v7
	v_add_f32_e32 v7, 0x241f9ee8, v7
	v_fma_f32 v3, v1, v7, -v3
	;; [unrolled: 2-line block ×22, first 2 shown]
	v_add_u32_e32 v7, 1, v13
	v_add_f32_e32 v1, 0x3f4df315, v1
	v_cmp_ge_f32_e64 s[4:5], 0, v15
	v_fma_f32 v8, -v7, v13, v2
	v_sub_f32_e32 v1, v1, v3
	v_cndmask_b32_e64 v3, v13, v14, s[4:5]
	v_cmp_lt_f32_e64 s[4:5], 0, v8
	v_cndmask_b32_e64 v3, v3, v7, s[4:5]
	v_mul_f32_e32 v7, 0x37800000, v3
	v_cndmask_b32_e32 v3, v3, v7, vcc
	v_mov_b32_e32 v7, 0x260
	v_mul_f32_e32 v1, 0.5, v1
	v_cmp_class_f32_e32 vcc, v2, v7
	v_mul_f32_e32 v1, v10, v1
	v_cndmask_b32_e32 v2, v3, v2, vcc
	v_div_scale_f32 v3, s[4:5], v2, v2, v1
	v_div_scale_f32 v7, vcc, v1, v2, v1
	v_rcp_f32_e32 v8, v3
	v_fma_f32 v10, -v3, v8, 1.0
	v_fmac_f32_e32 v8, v10, v8
	v_mul_f32_e32 v10, v7, v8
	v_fma_f32 v11, -v3, v10, v7
	v_fmac_f32_e32 v10, v11, v8
	v_fma_f32 v3, -v3, v10, v7
	v_div_fmas_f32 v3, v3, v8, v10
	v_div_fixup_f32 v7, v3, v2, v1
.LBB12_15:
	s_or_b64 exec, exec, s[14:15]
	s_mov_b32 s4, 0x41000000
	v_cmp_le_f32_e64 s[4:5], |v4|, s4
	s_and_saveexec_b64 s[14:15], s[4:5]
	s_xor_b64 s[4:5], exec, s[14:15]
	s_cbranch_execz .LBB12_17
; %bb.16:
	v_fma_f32 v1, |v4|, 0.5, -2.0
	v_mov_b32_e32 v2, 0x24199b15
	v_fmac_f32_e32 v2, 0xa2a2e5b9, v1
	v_mov_b32_e32 v3, 0x22a2e5b9
	v_fmac_f32_e32 v3, v1, v2
	v_add_f32_e32 v3, 0xa58c275c, v3
	v_fma_f32 v2, v1, v3, -v2
	v_add_f32_e32 v2, 0x26f736c5, v2
	v_fma_f32 v3, v1, v2, -v3
	;; [unrolled: 2-line block ×22, first 2 shown]
	v_add_f32_e32 v3, 0xbcc274f8, v3
	s_mov_b32 s14, 0x3fb8aa3b
	v_fma_f32 v2, v1, v3, -v2
	v_mul_f32_e64 v8, |v4|, s14
	v_add_f32_e32 v2, 0x3d49f456, v2
	v_rndne_f32_e32 v10, v8
	v_fma_f32 v3, v1, v2, -v3
	v_sub_f32_e32 v11, v8, v10
	v_fma_f32 v8, |v4|, s14, -v8
	s_mov_b32 s14, 0x32a5705f
	v_add_f32_e32 v3, 0xbdc25b82, v3
	v_fma_f32 v8, |v4|, s14, v8
	v_fma_f32 v2, v1, v3, -v2
	v_add_f32_e32 v8, v11, v8
	v_add_f32_e32 v2, 0x3e2fbd64, v2
	v_exp_f32_e32 v8, v8
	v_cvt_i32_f32_e32 v10, v10
	v_fma_f32 v3, v1, v2, -v3
	v_add_f32_e32 v3, 0xbe9bff5e, v3
	v_fma_f32 v1, v1, v3, -v2
	s_mov_b32 s14, 0xc2ce8ed0
	v_add_f32_e32 v1, 0x3f2d4275, v1
	v_ldexp_f32 v3, v8, v10
	v_cmp_nlt_f32_e64 vcc, |v4|, s14
	s_mov_b32 s14, 0x42b17218
	v_cndmask_b32_e32 v3, 0, v3, vcc
	v_mov_b32_e32 v8, 0x7f800000
	v_cmp_ngt_f32_e64 vcc, |v4|, s14
	v_sub_f32_e32 v1, v1, v2
	v_cndmask_b32_e32 v3, v8, v3, vcc
	v_mul_f32_e32 v1, 0.5, v1
	v_mul_f32_e32 v8, v3, v1
                                        ; implicit-def: $vgpr1_vgpr2_vgpr3_vgpr4
.LBB12_17:
	s_andn2_saveexec_b64 s[14:15], s[4:5]
	s_cbranch_execz .LBB12_19
; %bb.18:
	v_and_b32_e32 v1, 0x7fffffff, v4
	s_mov_b32 s16, 0x42000000
	v_div_scale_f32 v2, s[4:5], v1, v1, s16
	v_div_scale_f32 v1, vcc, s16, v1, s16
	s_mov_b32 s4, 0x3fb8aa3b
	v_mul_f32_e64 v10, |v4|, s4
	s_mov_b32 s5, 0x32a5705f
	v_rndne_f32_e32 v13, v10
	v_fma_f32 v14, |v4|, s4, -v10
	s_mov_b32 s19, 0xf800000
	s_mov_b32 s20, 0x4f800000
	v_sub_f32_e32 v10, v10, v13
	v_mul_f32_e64 v12, |v4|, s20
	v_mov_b32_e32 v3, 0xa2b236d3
	v_mov_b32_e32 v8, 0x23056dbb
	s_mov_b32 s17, 0xc2ce8ed0
	v_rcp_f32_e32 v11, v2
	s_mov_b32 s18, 0x42b17218
	v_fma_f32 v15, -v2, v11, 1.0
	v_fmac_f32_e32 v11, v15, v11
	v_mul_f32_e32 v15, v1, v11
	v_fma_f32 v16, -v2, v15, v1
	v_fmac_f32_e32 v15, v16, v11
	v_fma_f32 v1, -v2, v15, v1
	v_div_fmas_f32 v1, v1, v11, v15
	v_fma_f32 v11, |v4|, s5, v14
	v_cmp_lt_f32_e64 vcc, |v4|, s19
	v_add_f32_e32 v10, v10, v11
	v_cndmask_b32_e64 v2, |v4|, v12, vcc
	v_cvt_i32_f32_e32 v12, v13
	v_exp_f32_e32 v10, v10
	v_cmp_nlt_f32_e64 s[4:5], |v4|, s17
	v_sqrt_f32_e32 v13, v2
	v_mov_b32_e32 v11, 0x7f800000
	v_ldexp_f32 v10, v10, v12
	v_cndmask_b32_e64 v10, 0, v10, s[4:5]
	v_cmp_ngt_f32_e64 s[4:5], |v4|, s18
	v_add_u32_e32 v14, -1, v13
	v_fma_f32 v15, -v14, v13, v2
	v_cndmask_b32_e64 v10, v11, v10, s[4:5]
	v_div_fixup_f32 v1, v1, |v4|, s16
	v_add_f32_e32 v1, -2.0, v1
	v_fmac_f32_e32 v3, 0xa3056dbb, v1
	v_fmac_f32_e32 v8, v1, v3
	v_add_f32_e32 v4, 0x244df0c1, v8
	v_fma_f32 v3, v1, v4, -v3
	v_add_f32_e32 v3, 0x241f9ee8, v3
	v_fma_f32 v4, v1, v3, -v4
	;; [unrolled: 2-line block ×22, first 2 shown]
	v_add_f32_e32 v1, 0x3f4df315, v1
	v_sub_f32_e32 v1, v1, v4
	v_add_u32_e32 v4, 1, v13
	v_cmp_ge_f32_e64 s[4:5], 0, v15
	v_fma_f32 v8, -v4, v13, v2
	v_cndmask_b32_e64 v3, v13, v14, s[4:5]
	v_cmp_lt_f32_e64 s[4:5], 0, v8
	v_cndmask_b32_e64 v3, v3, v4, s[4:5]
	v_mul_f32_e32 v4, 0x37800000, v3
	v_cndmask_b32_e32 v3, v3, v4, vcc
	v_mov_b32_e32 v4, 0x260
	v_mul_f32_e32 v1, 0.5, v1
	v_cmp_class_f32_e32 vcc, v2, v4
	v_mul_f32_e32 v1, v10, v1
	v_cndmask_b32_e32 v2, v3, v2, vcc
	v_div_scale_f32 v3, s[4:5], v2, v2, v1
	v_div_scale_f32 v4, vcc, v1, v2, v1
	v_rcp_f32_e32 v8, v3
	v_fma_f32 v10, -v3, v8, 1.0
	v_fmac_f32_e32 v8, v10, v8
	v_mul_f32_e32 v10, v4, v8
	v_fma_f32 v11, -v3, v10, v4
	v_fmac_f32_e32 v10, v11, v8
	v_fma_f32 v3, -v3, v10, v4
	v_div_fmas_f32 v3, v3, v8, v10
	v_div_fixup_f32 v8, v3, v2, v1
.LBB12_19:
	s_or_b64 exec, exec, s[14:15]
	s_add_u32 s4, s8, s12
	s_addc_u32 s5, s9, s13
	global_store_dwordx4 v9, v[5:8], s[4:5]
	s_branch .LBB12_2
.LBB12_20:
	s_getpc_b64 s[4:5]
	s_add_u32 s4, s4, _ZN2at6native25elementwise_kernel_helperILb0EZZZNS0_12_GLOBAL__N_130modified_bessel_i0_kernel_cudaERNS_18TensorIteratorBaseEENKUlvE_clEvENKUlvE0_clEvEUlfE_NS0_6memory8policies11unroll_baseILi256ESt5arrayIPcLm2EE23TrivialOffsetCalculatorILi1EjESF_NS8_15LoadWithoutCastENS8_16StoreWithoutCastELi4ELi1EEEEEvT0_T1_@rel32@lo+4
	s_addc_u32 s5, s5, _ZN2at6native25elementwise_kernel_helperILb0EZZZNS0_12_GLOBAL__N_130modified_bessel_i0_kernel_cudaERNS_18TensorIteratorBaseEENKUlvE_clEvENKUlvE0_clEvEUlfE_NS0_6memory8policies11unroll_baseILi256ESt5arrayIPcLm2EE23TrivialOffsetCalculatorILi1EjESF_NS8_15LoadWithoutCastENS8_16StoreWithoutCastELi4ELi1EEEEEvT0_T1_@rel32@hi+12
	s_mov_b32 s12, s6
	v_mov_b32_e32 v31, v0
	v_mov_b32_e32 v0, s8
	;; [unrolled: 1-line block ×6, first 2 shown]
	s_swappc_b64 s[30:31], s[4:5]
	s_endpgm
	.section	.rodata,"a",@progbits
	.p2align	6, 0x0
	.amdhsa_kernel _ZN2at6native29vectorized_elementwise_kernelILi8EZZZNS0_12_GLOBAL__N_130modified_bessel_i0_kernel_cudaERNS_18TensorIteratorBaseEENKUlvE_clEvENKUlvE0_clEvEUlfE_St5arrayIPcLm2EEEEviT0_T1_
		.amdhsa_group_segment_fixed_size 0
		.amdhsa_private_segment_fixed_size 0
		.amdhsa_kernarg_size 24
		.amdhsa_user_sgpr_count 6
		.amdhsa_user_sgpr_private_segment_buffer 1
		.amdhsa_user_sgpr_dispatch_ptr 0
		.amdhsa_user_sgpr_queue_ptr 0
		.amdhsa_user_sgpr_kernarg_segment_ptr 1
		.amdhsa_user_sgpr_dispatch_id 0
		.amdhsa_user_sgpr_flat_scratch_init 0
		.amdhsa_user_sgpr_private_segment_size 0
		.amdhsa_uses_dynamic_stack 0
		.amdhsa_system_sgpr_private_segment_wavefront_offset 0
		.amdhsa_system_sgpr_workgroup_id_x 1
		.amdhsa_system_sgpr_workgroup_id_y 0
		.amdhsa_system_sgpr_workgroup_id_z 0
		.amdhsa_system_sgpr_workgroup_info 0
		.amdhsa_system_vgpr_workitem_id 0
		.amdhsa_next_free_vgpr 32
		.amdhsa_next_free_sgpr 33
		.amdhsa_reserve_vcc 1
		.amdhsa_reserve_flat_scratch 0
		.amdhsa_float_round_mode_32 0
		.amdhsa_float_round_mode_16_64 0
		.amdhsa_float_denorm_mode_32 3
		.amdhsa_float_denorm_mode_16_64 3
		.amdhsa_dx10_clamp 1
		.amdhsa_ieee_mode 1
		.amdhsa_fp16_overflow 0
		.amdhsa_exception_fp_ieee_invalid_op 0
		.amdhsa_exception_fp_denorm_src 0
		.amdhsa_exception_fp_ieee_div_zero 0
		.amdhsa_exception_fp_ieee_overflow 0
		.amdhsa_exception_fp_ieee_underflow 0
		.amdhsa_exception_fp_ieee_inexact 0
		.amdhsa_exception_int_div_zero 0
	.end_amdhsa_kernel
	.section	.text._ZN2at6native29vectorized_elementwise_kernelILi8EZZZNS0_12_GLOBAL__N_130modified_bessel_i0_kernel_cudaERNS_18TensorIteratorBaseEENKUlvE_clEvENKUlvE0_clEvEUlfE_St5arrayIPcLm2EEEEviT0_T1_,"axG",@progbits,_ZN2at6native29vectorized_elementwise_kernelILi8EZZZNS0_12_GLOBAL__N_130modified_bessel_i0_kernel_cudaERNS_18TensorIteratorBaseEENKUlvE_clEvENKUlvE0_clEvEUlfE_St5arrayIPcLm2EEEEviT0_T1_,comdat
.Lfunc_end12:
	.size	_ZN2at6native29vectorized_elementwise_kernelILi8EZZZNS0_12_GLOBAL__N_130modified_bessel_i0_kernel_cudaERNS_18TensorIteratorBaseEENKUlvE_clEvENKUlvE0_clEvEUlfE_St5arrayIPcLm2EEEEviT0_T1_, .Lfunc_end12-_ZN2at6native29vectorized_elementwise_kernelILi8EZZZNS0_12_GLOBAL__N_130modified_bessel_i0_kernel_cudaERNS_18TensorIteratorBaseEENKUlvE_clEvENKUlvE0_clEvEUlfE_St5arrayIPcLm2EEEEviT0_T1_
                                        ; -- End function
	.set _ZN2at6native29vectorized_elementwise_kernelILi8EZZZNS0_12_GLOBAL__N_130modified_bessel_i0_kernel_cudaERNS_18TensorIteratorBaseEENKUlvE_clEvENKUlvE0_clEvEUlfE_St5arrayIPcLm2EEEEviT0_T1_.num_vgpr, max(32, .L_ZN2at6native25elementwise_kernel_helperILb0EZZZNS0_12_GLOBAL__N_130modified_bessel_i0_kernel_cudaERNS_18TensorIteratorBaseEENKUlvE_clEvENKUlvE0_clEvEUlfE_NS0_6memory8policies11unroll_baseILi256ESt5arrayIPcLm2EE23TrivialOffsetCalculatorILi1EjESF_NS8_15LoadWithoutCastENS8_16StoreWithoutCastELi4ELi1EEEEEvT0_T1_.num_vgpr)
	.set _ZN2at6native29vectorized_elementwise_kernelILi8EZZZNS0_12_GLOBAL__N_130modified_bessel_i0_kernel_cudaERNS_18TensorIteratorBaseEENKUlvE_clEvENKUlvE0_clEvEUlfE_St5arrayIPcLm2EEEEviT0_T1_.num_agpr, max(0, .L_ZN2at6native25elementwise_kernel_helperILb0EZZZNS0_12_GLOBAL__N_130modified_bessel_i0_kernel_cudaERNS_18TensorIteratorBaseEENKUlvE_clEvENKUlvE0_clEvEUlfE_NS0_6memory8policies11unroll_baseILi256ESt5arrayIPcLm2EE23TrivialOffsetCalculatorILi1EjESF_NS8_15LoadWithoutCastENS8_16StoreWithoutCastELi4ELi1EEEEEvT0_T1_.num_agpr)
	.set _ZN2at6native29vectorized_elementwise_kernelILi8EZZZNS0_12_GLOBAL__N_130modified_bessel_i0_kernel_cudaERNS_18TensorIteratorBaseEENKUlvE_clEvENKUlvE0_clEvEUlfE_St5arrayIPcLm2EEEEviT0_T1_.numbered_sgpr, max(33, .L_ZN2at6native25elementwise_kernel_helperILb0EZZZNS0_12_GLOBAL__N_130modified_bessel_i0_kernel_cudaERNS_18TensorIteratorBaseEENKUlvE_clEvENKUlvE0_clEvEUlfE_NS0_6memory8policies11unroll_baseILi256ESt5arrayIPcLm2EE23TrivialOffsetCalculatorILi1EjESF_NS8_15LoadWithoutCastENS8_16StoreWithoutCastELi4ELi1EEEEEvT0_T1_.numbered_sgpr)
	.set _ZN2at6native29vectorized_elementwise_kernelILi8EZZZNS0_12_GLOBAL__N_130modified_bessel_i0_kernel_cudaERNS_18TensorIteratorBaseEENKUlvE_clEvENKUlvE0_clEvEUlfE_St5arrayIPcLm2EEEEviT0_T1_.num_named_barrier, max(0, .L_ZN2at6native25elementwise_kernel_helperILb0EZZZNS0_12_GLOBAL__N_130modified_bessel_i0_kernel_cudaERNS_18TensorIteratorBaseEENKUlvE_clEvENKUlvE0_clEvEUlfE_NS0_6memory8policies11unroll_baseILi256ESt5arrayIPcLm2EE23TrivialOffsetCalculatorILi1EjESF_NS8_15LoadWithoutCastENS8_16StoreWithoutCastELi4ELi1EEEEEvT0_T1_.num_named_barrier)
	.set _ZN2at6native29vectorized_elementwise_kernelILi8EZZZNS0_12_GLOBAL__N_130modified_bessel_i0_kernel_cudaERNS_18TensorIteratorBaseEENKUlvE_clEvENKUlvE0_clEvEUlfE_St5arrayIPcLm2EEEEviT0_T1_.private_seg_size, 0+max(.L_ZN2at6native25elementwise_kernel_helperILb0EZZZNS0_12_GLOBAL__N_130modified_bessel_i0_kernel_cudaERNS_18TensorIteratorBaseEENKUlvE_clEvENKUlvE0_clEvEUlfE_NS0_6memory8policies11unroll_baseILi256ESt5arrayIPcLm2EE23TrivialOffsetCalculatorILi1EjESF_NS8_15LoadWithoutCastENS8_16StoreWithoutCastELi4ELi1EEEEEvT0_T1_.private_seg_size)
	.set _ZN2at6native29vectorized_elementwise_kernelILi8EZZZNS0_12_GLOBAL__N_130modified_bessel_i0_kernel_cudaERNS_18TensorIteratorBaseEENKUlvE_clEvENKUlvE0_clEvEUlfE_St5arrayIPcLm2EEEEviT0_T1_.uses_vcc, or(1, .L_ZN2at6native25elementwise_kernel_helperILb0EZZZNS0_12_GLOBAL__N_130modified_bessel_i0_kernel_cudaERNS_18TensorIteratorBaseEENKUlvE_clEvENKUlvE0_clEvEUlfE_NS0_6memory8policies11unroll_baseILi256ESt5arrayIPcLm2EE23TrivialOffsetCalculatorILi1EjESF_NS8_15LoadWithoutCastENS8_16StoreWithoutCastELi4ELi1EEEEEvT0_T1_.uses_vcc)
	.set _ZN2at6native29vectorized_elementwise_kernelILi8EZZZNS0_12_GLOBAL__N_130modified_bessel_i0_kernel_cudaERNS_18TensorIteratorBaseEENKUlvE_clEvENKUlvE0_clEvEUlfE_St5arrayIPcLm2EEEEviT0_T1_.uses_flat_scratch, or(0, .L_ZN2at6native25elementwise_kernel_helperILb0EZZZNS0_12_GLOBAL__N_130modified_bessel_i0_kernel_cudaERNS_18TensorIteratorBaseEENKUlvE_clEvENKUlvE0_clEvEUlfE_NS0_6memory8policies11unroll_baseILi256ESt5arrayIPcLm2EE23TrivialOffsetCalculatorILi1EjESF_NS8_15LoadWithoutCastENS8_16StoreWithoutCastELi4ELi1EEEEEvT0_T1_.uses_flat_scratch)
	.set _ZN2at6native29vectorized_elementwise_kernelILi8EZZZNS0_12_GLOBAL__N_130modified_bessel_i0_kernel_cudaERNS_18TensorIteratorBaseEENKUlvE_clEvENKUlvE0_clEvEUlfE_St5arrayIPcLm2EEEEviT0_T1_.has_dyn_sized_stack, or(0, .L_ZN2at6native25elementwise_kernel_helperILb0EZZZNS0_12_GLOBAL__N_130modified_bessel_i0_kernel_cudaERNS_18TensorIteratorBaseEENKUlvE_clEvENKUlvE0_clEvEUlfE_NS0_6memory8policies11unroll_baseILi256ESt5arrayIPcLm2EE23TrivialOffsetCalculatorILi1EjESF_NS8_15LoadWithoutCastENS8_16StoreWithoutCastELi4ELi1EEEEEvT0_T1_.has_dyn_sized_stack)
	.set _ZN2at6native29vectorized_elementwise_kernelILi8EZZZNS0_12_GLOBAL__N_130modified_bessel_i0_kernel_cudaERNS_18TensorIteratorBaseEENKUlvE_clEvENKUlvE0_clEvEUlfE_St5arrayIPcLm2EEEEviT0_T1_.has_recursion, or(0, .L_ZN2at6native25elementwise_kernel_helperILb0EZZZNS0_12_GLOBAL__N_130modified_bessel_i0_kernel_cudaERNS_18TensorIteratorBaseEENKUlvE_clEvENKUlvE0_clEvEUlfE_NS0_6memory8policies11unroll_baseILi256ESt5arrayIPcLm2EE23TrivialOffsetCalculatorILi1EjESF_NS8_15LoadWithoutCastENS8_16StoreWithoutCastELi4ELi1EEEEEvT0_T1_.has_recursion)
	.set _ZN2at6native29vectorized_elementwise_kernelILi8EZZZNS0_12_GLOBAL__N_130modified_bessel_i0_kernel_cudaERNS_18TensorIteratorBaseEENKUlvE_clEvENKUlvE0_clEvEUlfE_St5arrayIPcLm2EEEEviT0_T1_.has_indirect_call, or(0, .L_ZN2at6native25elementwise_kernel_helperILb0EZZZNS0_12_GLOBAL__N_130modified_bessel_i0_kernel_cudaERNS_18TensorIteratorBaseEENKUlvE_clEvENKUlvE0_clEvEUlfE_NS0_6memory8policies11unroll_baseILi256ESt5arrayIPcLm2EE23TrivialOffsetCalculatorILi1EjESF_NS8_15LoadWithoutCastENS8_16StoreWithoutCastELi4ELi1EEEEEvT0_T1_.has_indirect_call)
	.section	.AMDGPU.csdata,"",@progbits
; Kernel info:
; codeLenInByte = 6012
; TotalNumSgprs: 37
; NumVgprs: 32
; ScratchSize: 0
; MemoryBound: 0
; FloatMode: 240
; IeeeMode: 1
; LDSByteSize: 0 bytes/workgroup (compile time only)
; SGPRBlocks: 4
; VGPRBlocks: 7
; NumSGPRsForWavesPerEU: 37
; NumVGPRsForWavesPerEU: 32
; Occupancy: 8
; WaveLimiterHint : 0
; COMPUTE_PGM_RSRC2:SCRATCH_EN: 0
; COMPUTE_PGM_RSRC2:USER_SGPR: 6
; COMPUTE_PGM_RSRC2:TRAP_HANDLER: 0
; COMPUTE_PGM_RSRC2:TGID_X_EN: 1
; COMPUTE_PGM_RSRC2:TGID_Y_EN: 0
; COMPUTE_PGM_RSRC2:TGID_Z_EN: 0
; COMPUTE_PGM_RSRC2:TIDIG_COMP_CNT: 0
	.section	.text._ZN2at6native29vectorized_elementwise_kernelILi4EZZZNS0_12_GLOBAL__N_130modified_bessel_i0_kernel_cudaERNS_18TensorIteratorBaseEENKUlvE_clEvENKUlvE0_clEvEUlfE_St5arrayIPcLm2EEEEviT0_T1_,"axG",@progbits,_ZN2at6native29vectorized_elementwise_kernelILi4EZZZNS0_12_GLOBAL__N_130modified_bessel_i0_kernel_cudaERNS_18TensorIteratorBaseEENKUlvE_clEvENKUlvE0_clEvEUlfE_St5arrayIPcLm2EEEEviT0_T1_,comdat
	.globl	_ZN2at6native29vectorized_elementwise_kernelILi4EZZZNS0_12_GLOBAL__N_130modified_bessel_i0_kernel_cudaERNS_18TensorIteratorBaseEENKUlvE_clEvENKUlvE0_clEvEUlfE_St5arrayIPcLm2EEEEviT0_T1_ ; -- Begin function _ZN2at6native29vectorized_elementwise_kernelILi4EZZZNS0_12_GLOBAL__N_130modified_bessel_i0_kernel_cudaERNS_18TensorIteratorBaseEENKUlvE_clEvENKUlvE0_clEvEUlfE_St5arrayIPcLm2EEEEviT0_T1_
	.p2align	8
	.type	_ZN2at6native29vectorized_elementwise_kernelILi4EZZZNS0_12_GLOBAL__N_130modified_bessel_i0_kernel_cudaERNS_18TensorIteratorBaseEENKUlvE_clEvENKUlvE0_clEvEUlfE_St5arrayIPcLm2EEEEviT0_T1_,@function
_ZN2at6native29vectorized_elementwise_kernelILi4EZZZNS0_12_GLOBAL__N_130modified_bessel_i0_kernel_cudaERNS_18TensorIteratorBaseEENKUlvE_clEvENKUlvE0_clEvEUlfE_St5arrayIPcLm2EEEEviT0_T1_: ; @_ZN2at6native29vectorized_elementwise_kernelILi4EZZZNS0_12_GLOBAL__N_130modified_bessel_i0_kernel_cudaERNS_18TensorIteratorBaseEENKUlvE_clEvENKUlvE0_clEvEUlfE_St5arrayIPcLm2EEEEviT0_T1_
; %bb.0:
	s_add_u32 s0, s0, s7
	s_load_dword s7, s[4:5], 0x0
	s_load_dwordx4 s[8:11], s[4:5], 0x8
	s_addc_u32 s1, s1, 0
	s_lshl_b32 s4, s6, 10
	s_mov_b64 s[12:13], -1
	s_waitcnt lgkmcnt(0)
	s_sub_i32 s7, s7, s4
	s_cmpk_gt_i32 s7, 0x3ff
	s_mov_b32 s32, 0
	s_cbranch_scc1 .LBB13_3
; %bb.1:
	s_and_b64 vcc, exec, s[12:13]
	s_cbranch_vccnz .LBB13_20
.LBB13_2:
	s_endpgm
.LBB13_3:
	s_ashr_i32 s5, s4, 31
	s_lshl_b64 s[12:13], s[4:5], 2
	s_add_u32 s4, s10, s12
	s_addc_u32 s5, s11, s13
	v_lshlrev_b32_e32 v9, 4, v0
	global_load_dwordx4 v[1:4], v9, s[4:5]
	s_mov_b32 s4, 0x41000000
                                        ; implicit-def: $vgpr5
	s_waitcnt vmcnt(0)
	v_cmp_le_f32_e64 s[4:5], |v1|, s4
	s_and_saveexec_b64 s[14:15], s[4:5]
	s_xor_b64 s[4:5], exec, s[14:15]
	s_cbranch_execz .LBB13_5
; %bb.4:
	v_fma_f32 v5, |v1|, 0.5, -2.0
	v_mov_b32_e32 v6, 0x24199b15
	v_fmac_f32_e32 v6, 0xa2a2e5b9, v5
	v_mov_b32_e32 v7, 0x22a2e5b9
	v_fmac_f32_e32 v7, v5, v6
	v_add_f32_e32 v7, 0xa58c275c, v7
	v_fma_f32 v6, v5, v7, -v6
	v_add_f32_e32 v6, 0x26f736c5, v6
	v_fma_f32 v7, v5, v6, -v7
	;; [unrolled: 2-line block ×22, first 2 shown]
	v_add_f32_e32 v7, 0xbcc274f8, v7
	s_mov_b32 s14, 0x3fb8aa3b
	v_fma_f32 v6, v5, v7, -v6
	v_mul_f32_e64 v8, |v1|, s14
	v_add_f32_e32 v6, 0x3d49f456, v6
	v_rndne_f32_e32 v10, v8
	v_fma_f32 v7, v5, v6, -v7
	v_sub_f32_e32 v11, v8, v10
	v_fma_f32 v8, |v1|, s14, -v8
	s_mov_b32 s14, 0x32a5705f
	v_add_f32_e32 v7, 0xbdc25b82, v7
	v_fma_f32 v8, |v1|, s14, v8
	v_fma_f32 v6, v5, v7, -v6
	v_add_f32_e32 v8, v11, v8
	v_add_f32_e32 v6, 0x3e2fbd64, v6
	v_exp_f32_e32 v8, v8
	v_cvt_i32_f32_e32 v10, v10
	v_fma_f32 v7, v5, v6, -v7
	v_add_f32_e32 v7, 0xbe9bff5e, v7
	v_fma_f32 v5, v5, v7, -v6
	s_mov_b32 s14, 0xc2ce8ed0
	v_add_f32_e32 v5, 0x3f2d4275, v5
	v_ldexp_f32 v7, v8, v10
	v_cmp_nlt_f32_e64 vcc, |v1|, s14
	s_mov_b32 s14, 0x42b17218
	v_cndmask_b32_e32 v7, 0, v7, vcc
	v_mov_b32_e32 v8, 0x7f800000
	v_cmp_ngt_f32_e64 vcc, |v1|, s14
	v_sub_f32_e32 v5, v5, v6
	v_cndmask_b32_e32 v7, v8, v7, vcc
	v_mul_f32_e32 v5, 0.5, v5
	v_mul_f32_e32 v5, v7, v5
.LBB13_5:
	s_andn2_saveexec_b64 s[14:15], s[4:5]
	s_cbranch_execz .LBB13_7
; %bb.6:
	v_and_b32_e32 v5, 0x7fffffff, v1
	s_mov_b32 s16, 0x42000000
	v_div_scale_f32 v6, s[4:5], v5, v5, s16
	v_div_scale_f32 v5, vcc, s16, v5, s16
	s_mov_b32 s4, 0x3fb8aa3b
	v_mul_f32_e64 v10, |v1|, s4
	s_mov_b32 s5, 0x32a5705f
	v_rndne_f32_e32 v13, v10
	v_fma_f32 v14, |v1|, s4, -v10
	s_mov_b32 s19, 0xf800000
	s_mov_b32 s20, 0x4f800000
	v_sub_f32_e32 v10, v10, v13
	v_mul_f32_e64 v12, |v1|, s20
	s_mov_b32 s17, 0xc2ce8ed0
	s_mov_b32 s18, 0x42b17218
	v_mov_b32_e32 v7, 0xa2b236d3
	v_rcp_f32_e32 v11, v6
	v_mov_b32_e32 v8, 0x23056dbb
	v_fma_f32 v15, -v6, v11, 1.0
	v_fmac_f32_e32 v11, v15, v11
	v_mul_f32_e32 v15, v5, v11
	v_fma_f32 v16, -v6, v15, v5
	v_fmac_f32_e32 v15, v16, v11
	v_fma_f32 v5, -v6, v15, v5
	v_div_fmas_f32 v5, v5, v11, v15
	v_fma_f32 v11, |v1|, s5, v14
	v_cmp_lt_f32_e64 vcc, |v1|, s19
	v_add_f32_e32 v10, v10, v11
	v_cndmask_b32_e64 v6, |v1|, v12, vcc
	v_cvt_i32_f32_e32 v12, v13
	v_exp_f32_e32 v10, v10
	v_cmp_nlt_f32_e64 s[4:5], |v1|, s17
	v_sqrt_f32_e32 v13, v6
	v_mov_b32_e32 v11, 0x7f800000
	v_ldexp_f32 v10, v10, v12
	v_cndmask_b32_e64 v10, 0, v10, s[4:5]
	v_cmp_ngt_f32_e64 s[4:5], |v1|, s18
	v_add_u32_e32 v14, -1, v13
	v_fma_f32 v15, -v14, v13, v6
	v_cndmask_b32_e64 v10, v11, v10, s[4:5]
	v_div_fixup_f32 v1, v5, |v1|, s16
	v_add_f32_e32 v1, -2.0, v1
	v_fmac_f32_e32 v7, 0xa3056dbb, v1
	v_fmac_f32_e32 v8, v1, v7
	v_add_f32_e32 v5, 0x244df0c1, v8
	v_fma_f32 v7, v1, v5, -v7
	v_add_f32_e32 v7, 0x241f9ee8, v7
	v_fma_f32 v5, v1, v7, -v5
	;; [unrolled: 2-line block ×22, first 2 shown]
	v_add_u32_e32 v7, 1, v13
	v_add_f32_e32 v1, 0x3f4df315, v1
	v_cmp_ge_f32_e64 s[4:5], 0, v15
	v_fma_f32 v8, -v7, v13, v6
	v_sub_f32_e32 v1, v1, v5
	v_cndmask_b32_e64 v5, v13, v14, s[4:5]
	v_cmp_lt_f32_e64 s[4:5], 0, v8
	v_cndmask_b32_e64 v5, v5, v7, s[4:5]
	v_mul_f32_e32 v7, 0x37800000, v5
	v_cndmask_b32_e32 v5, v5, v7, vcc
	v_mov_b32_e32 v7, 0x260
	v_mul_f32_e32 v1, 0.5, v1
	v_cmp_class_f32_e32 vcc, v6, v7
	v_mul_f32_e32 v1, v10, v1
	v_cndmask_b32_e32 v5, v5, v6, vcc
	v_div_scale_f32 v6, s[4:5], v5, v5, v1
	v_div_scale_f32 v7, vcc, v1, v5, v1
	v_rcp_f32_e32 v8, v6
	v_fma_f32 v10, -v6, v8, 1.0
	v_fmac_f32_e32 v8, v10, v8
	v_mul_f32_e32 v10, v7, v8
	v_fma_f32 v11, -v6, v10, v7
	v_fmac_f32_e32 v10, v11, v8
	v_fma_f32 v6, -v6, v10, v7
	v_div_fmas_f32 v6, v6, v8, v10
	v_div_fixup_f32 v5, v6, v5, v1
.LBB13_7:
	s_or_b64 exec, exec, s[14:15]
	s_mov_b32 s4, 0x41000000
	v_cmp_le_f32_e64 s[4:5], |v2|, s4
	s_and_saveexec_b64 s[14:15], s[4:5]
	s_xor_b64 s[4:5], exec, s[14:15]
	s_cbranch_execz .LBB13_9
; %bb.8:
	v_fma_f32 v1, |v2|, 0.5, -2.0
	v_mov_b32_e32 v6, 0x24199b15
	v_fmac_f32_e32 v6, 0xa2a2e5b9, v1
	v_mov_b32_e32 v7, 0x22a2e5b9
	v_fmac_f32_e32 v7, v1, v6
	v_add_f32_e32 v7, 0xa58c275c, v7
	v_fma_f32 v6, v1, v7, -v6
	v_add_f32_e32 v6, 0x26f736c5, v6
	v_fma_f32 v7, v1, v6, -v7
	;; [unrolled: 2-line block ×22, first 2 shown]
	v_add_f32_e32 v7, 0xbcc274f8, v7
	s_mov_b32 s14, 0x3fb8aa3b
	v_fma_f32 v6, v1, v7, -v6
	v_mul_f32_e64 v8, |v2|, s14
	v_add_f32_e32 v6, 0x3d49f456, v6
	v_rndne_f32_e32 v10, v8
	v_fma_f32 v7, v1, v6, -v7
	v_sub_f32_e32 v11, v8, v10
	v_fma_f32 v8, |v2|, s14, -v8
	s_mov_b32 s14, 0x32a5705f
	v_add_f32_e32 v7, 0xbdc25b82, v7
	v_fma_f32 v8, |v2|, s14, v8
	v_fma_f32 v6, v1, v7, -v6
	v_add_f32_e32 v8, v11, v8
	v_add_f32_e32 v6, 0x3e2fbd64, v6
	v_exp_f32_e32 v8, v8
	v_cvt_i32_f32_e32 v10, v10
	v_fma_f32 v7, v1, v6, -v7
	v_add_f32_e32 v7, 0xbe9bff5e, v7
	v_fma_f32 v1, v1, v7, -v6
	s_mov_b32 s14, 0xc2ce8ed0
	v_add_f32_e32 v1, 0x3f2d4275, v1
	v_ldexp_f32 v7, v8, v10
	v_cmp_nlt_f32_e64 vcc, |v2|, s14
	s_mov_b32 s14, 0x42b17218
	v_cndmask_b32_e32 v7, 0, v7, vcc
	v_mov_b32_e32 v8, 0x7f800000
	v_cmp_ngt_f32_e64 vcc, |v2|, s14
	v_sub_f32_e32 v1, v1, v6
	v_cndmask_b32_e32 v7, v8, v7, vcc
	v_mul_f32_e32 v1, 0.5, v1
	v_mul_f32_e32 v6, v7, v1
.LBB13_9:
	s_andn2_saveexec_b64 s[14:15], s[4:5]
	s_cbranch_execz .LBB13_11
; %bb.10:
	v_and_b32_e32 v1, 0x7fffffff, v2
	s_mov_b32 s16, 0x42000000
	v_div_scale_f32 v6, s[4:5], v1, v1, s16
	v_div_scale_f32 v1, vcc, s16, v1, s16
	s_mov_b32 s4, 0x3fb8aa3b
	v_mul_f32_e64 v10, |v2|, s4
	s_mov_b32 s5, 0x32a5705f
	v_rndne_f32_e32 v13, v10
	v_fma_f32 v14, |v2|, s4, -v10
	s_mov_b32 s19, 0xf800000
	s_mov_b32 s20, 0x4f800000
	v_sub_f32_e32 v10, v10, v13
	v_mul_f32_e64 v12, |v2|, s20
	v_mov_b32_e32 v7, 0xa2b236d3
	v_mov_b32_e32 v8, 0x23056dbb
	s_mov_b32 s17, 0xc2ce8ed0
	v_rcp_f32_e32 v11, v6
	s_mov_b32 s18, 0x42b17218
	v_fma_f32 v15, -v6, v11, 1.0
	v_fmac_f32_e32 v11, v15, v11
	v_mul_f32_e32 v15, v1, v11
	v_fma_f32 v16, -v6, v15, v1
	v_fmac_f32_e32 v15, v16, v11
	v_fma_f32 v1, -v6, v15, v1
	v_div_fmas_f32 v1, v1, v11, v15
	v_fma_f32 v11, |v2|, s5, v14
	v_cmp_lt_f32_e64 vcc, |v2|, s19
	v_add_f32_e32 v10, v10, v11
	v_cndmask_b32_e64 v6, |v2|, v12, vcc
	v_cvt_i32_f32_e32 v12, v13
	v_exp_f32_e32 v10, v10
	v_cmp_nlt_f32_e64 s[4:5], |v2|, s17
	v_sqrt_f32_e32 v13, v6
	v_mov_b32_e32 v11, 0x7f800000
	v_ldexp_f32 v10, v10, v12
	v_cndmask_b32_e64 v10, 0, v10, s[4:5]
	v_cmp_ngt_f32_e64 s[4:5], |v2|, s18
	v_add_u32_e32 v14, -1, v13
	v_fma_f32 v15, -v14, v13, v6
	v_cndmask_b32_e64 v10, v11, v10, s[4:5]
	v_div_fixup_f32 v1, v1, |v2|, s16
	v_add_f32_e32 v1, -2.0, v1
	v_fmac_f32_e32 v7, 0xa3056dbb, v1
	v_fmac_f32_e32 v8, v1, v7
	v_add_f32_e32 v2, 0x244df0c1, v8
	v_fma_f32 v7, v1, v2, -v7
	v_add_f32_e32 v7, 0x241f9ee8, v7
	v_fma_f32 v2, v1, v7, -v2
	v_add_f32_e32 v2, 0xa5a3005d, v2
	v_fma_f32 v7, v1, v2, -v7
	v_add_f32_e32 v7, 0xa5c5773f, v7
	v_fma_f32 v2, v1, v7, -v2
	v_add_f32_e32 v2, 0x26ff73ed, v2
	v_fma_f32 v7, v1, v2, -v7
	v_add_f32_e32 v7, 0x2789548d, v7
	v_fma_f32 v2, v1, v7, -v2
	v_add_f32_e32 v2, 0xa82c1ff4, v2
	v_fma_f32 v7, v1, v2, -v7
	v_add_f32_e32 v7, 0xa93aecce, v7
	v_fma_f32 v2, v1, v7, -v2
	v_add_f32_e32 v2, 0x288ab7f8, v2
	v_fma_f32 v7, v1, v2, -v7
	v_add_f32_e32 v7, 0x2ad8e463, v7
	v_fma_f32 v2, v1, v7, -v2
	v_add_f32_e32 v2, 0x2b4a1a40, v2
	v_fma_f32 v7, v1, v2, -v7
	v_add_f32_e32 v7, 0xabfc8218, v7
	v_fma_f32 v2, v1, v7, -v2
	v_add_f32_e32 v2, 0xad687eba, v2
	v_fma_f32 v7, v1, v2, -v7
	v_add_f32_e32 v7, 0xae0a88e8, v7
	v_fma_f32 v2, v1, v7, -v2
	v_add_f32_e32 v2, 0x2d5127f5, v2
	v_fma_f32 v7, v1, v2, -v7
	v_add_f32_e32 v7, 0x3007ce66, v7
	v_fma_f32 v2, v1, v7, -v2
	v_add_f32_e32 v2, 0x31696325, v2
	v_fma_f32 v7, v1, v2, -v7
	v_add_f32_e32 v7, 0x32c2b494, v7
	v_fma_f32 v2, v1, v7, -v2
	v_add_f32_e32 v2, 0x345c003f, v2
	v_fma_f32 v7, v1, v2, -v7
	v_add_f32_e32 v7, 0x3642095e, v7
	v_fma_f32 v2, v1, v7, -v2
	v_add_f32_e32 v2, 0x38907d1c, v2
	v_fma_f32 v7, v1, v2, -v7
	v_add_f32_e32 v7, 0x3b5ccc65, v7
	v_fma_f32 v1, v1, v7, -v2
	v_add_u32_e32 v7, 1, v13
	v_add_f32_e32 v1, 0x3f4df315, v1
	v_cmp_ge_f32_e64 s[4:5], 0, v15
	v_fma_f32 v8, -v7, v13, v6
	v_sub_f32_e32 v1, v1, v2
	v_cndmask_b32_e64 v2, v13, v14, s[4:5]
	v_cmp_lt_f32_e64 s[4:5], 0, v8
	v_cndmask_b32_e64 v2, v2, v7, s[4:5]
	v_mul_f32_e32 v7, 0x37800000, v2
	v_cndmask_b32_e32 v2, v2, v7, vcc
	v_mov_b32_e32 v7, 0x260
	v_mul_f32_e32 v1, 0.5, v1
	v_cmp_class_f32_e32 vcc, v6, v7
	v_mul_f32_e32 v1, v10, v1
	v_cndmask_b32_e32 v2, v2, v6, vcc
	v_div_scale_f32 v6, s[4:5], v2, v2, v1
	v_div_scale_f32 v7, vcc, v1, v2, v1
	v_rcp_f32_e32 v8, v6
	v_fma_f32 v10, -v6, v8, 1.0
	v_fmac_f32_e32 v8, v10, v8
	v_mul_f32_e32 v10, v7, v8
	v_fma_f32 v11, -v6, v10, v7
	v_fmac_f32_e32 v10, v11, v8
	v_fma_f32 v6, -v6, v10, v7
	v_div_fmas_f32 v6, v6, v8, v10
	v_div_fixup_f32 v6, v6, v2, v1
.LBB13_11:
	s_or_b64 exec, exec, s[14:15]
	s_mov_b32 s4, 0x41000000
	v_cmp_le_f32_e64 s[4:5], |v3|, s4
	s_and_saveexec_b64 s[14:15], s[4:5]
	s_xor_b64 s[4:5], exec, s[14:15]
	s_cbranch_execz .LBB13_13
; %bb.12:
	v_fma_f32 v1, |v3|, 0.5, -2.0
	v_mov_b32_e32 v2, 0x24199b15
	v_fmac_f32_e32 v2, 0xa2a2e5b9, v1
	v_mov_b32_e32 v7, 0x22a2e5b9
	v_fmac_f32_e32 v7, v1, v2
	v_add_f32_e32 v7, 0xa58c275c, v7
	v_fma_f32 v2, v1, v7, -v2
	v_add_f32_e32 v2, 0x26f736c5, v2
	v_fma_f32 v7, v1, v2, -v7
	;; [unrolled: 2-line block ×22, first 2 shown]
	v_add_f32_e32 v7, 0xbcc274f8, v7
	s_mov_b32 s14, 0x3fb8aa3b
	v_fma_f32 v2, v1, v7, -v2
	v_mul_f32_e64 v8, |v3|, s14
	v_add_f32_e32 v2, 0x3d49f456, v2
	v_rndne_f32_e32 v10, v8
	v_fma_f32 v7, v1, v2, -v7
	v_sub_f32_e32 v11, v8, v10
	v_fma_f32 v8, |v3|, s14, -v8
	s_mov_b32 s14, 0x32a5705f
	v_add_f32_e32 v7, 0xbdc25b82, v7
	v_fma_f32 v8, |v3|, s14, v8
	v_fma_f32 v2, v1, v7, -v2
	v_add_f32_e32 v8, v11, v8
	v_add_f32_e32 v2, 0x3e2fbd64, v2
	v_exp_f32_e32 v8, v8
	v_cvt_i32_f32_e32 v10, v10
	v_fma_f32 v7, v1, v2, -v7
	v_add_f32_e32 v7, 0xbe9bff5e, v7
	v_fma_f32 v1, v1, v7, -v2
	s_mov_b32 s14, 0xc2ce8ed0
	v_add_f32_e32 v1, 0x3f2d4275, v1
	v_ldexp_f32 v7, v8, v10
	v_cmp_nlt_f32_e64 vcc, |v3|, s14
	s_mov_b32 s14, 0x42b17218
	v_cndmask_b32_e32 v7, 0, v7, vcc
	v_mov_b32_e32 v8, 0x7f800000
	v_cmp_ngt_f32_e64 vcc, |v3|, s14
	v_sub_f32_e32 v1, v1, v2
	v_cndmask_b32_e32 v7, v8, v7, vcc
	v_mul_f32_e32 v1, 0.5, v1
	v_mul_f32_e32 v7, v7, v1
.LBB13_13:
	s_andn2_saveexec_b64 s[14:15], s[4:5]
	s_cbranch_execz .LBB13_15
; %bb.14:
	v_and_b32_e32 v1, 0x7fffffff, v3
	s_mov_b32 s16, 0x42000000
	v_div_scale_f32 v2, s[4:5], v1, v1, s16
	v_div_scale_f32 v1, vcc, s16, v1, s16
	s_mov_b32 s4, 0x3fb8aa3b
	v_mul_f32_e64 v10, |v3|, s4
	s_mov_b32 s5, 0x32a5705f
	v_rndne_f32_e32 v13, v10
	v_fma_f32 v14, |v3|, s4, -v10
	s_mov_b32 s19, 0xf800000
	s_mov_b32 s20, 0x4f800000
	v_sub_f32_e32 v10, v10, v13
	v_mul_f32_e64 v12, |v3|, s20
	v_mov_b32_e32 v7, 0xa2b236d3
	v_mov_b32_e32 v8, 0x23056dbb
	s_mov_b32 s17, 0xc2ce8ed0
	v_rcp_f32_e32 v11, v2
	s_mov_b32 s18, 0x42b17218
	v_fma_f32 v15, -v2, v11, 1.0
	v_fmac_f32_e32 v11, v15, v11
	v_mul_f32_e32 v15, v1, v11
	v_fma_f32 v16, -v2, v15, v1
	v_fmac_f32_e32 v15, v16, v11
	v_fma_f32 v1, -v2, v15, v1
	v_div_fmas_f32 v1, v1, v11, v15
	v_fma_f32 v11, |v3|, s5, v14
	v_cmp_lt_f32_e64 vcc, |v3|, s19
	v_add_f32_e32 v10, v10, v11
	v_cndmask_b32_e64 v2, |v3|, v12, vcc
	v_cvt_i32_f32_e32 v12, v13
	v_exp_f32_e32 v10, v10
	v_cmp_nlt_f32_e64 s[4:5], |v3|, s17
	v_sqrt_f32_e32 v13, v2
	v_mov_b32_e32 v11, 0x7f800000
	v_ldexp_f32 v10, v10, v12
	v_cndmask_b32_e64 v10, 0, v10, s[4:5]
	v_cmp_ngt_f32_e64 s[4:5], |v3|, s18
	v_add_u32_e32 v14, -1, v13
	v_fma_f32 v15, -v14, v13, v2
	v_cndmask_b32_e64 v10, v11, v10, s[4:5]
	v_div_fixup_f32 v1, v1, |v3|, s16
	v_add_f32_e32 v1, -2.0, v1
	v_fmac_f32_e32 v7, 0xa3056dbb, v1
	v_fmac_f32_e32 v8, v1, v7
	v_add_f32_e32 v3, 0x244df0c1, v8
	v_fma_f32 v7, v1, v3, -v7
	v_add_f32_e32 v7, 0x241f9ee8, v7
	v_fma_f32 v3, v1, v7, -v3
	;; [unrolled: 2-line block ×22, first 2 shown]
	v_add_u32_e32 v7, 1, v13
	v_add_f32_e32 v1, 0x3f4df315, v1
	v_cmp_ge_f32_e64 s[4:5], 0, v15
	v_fma_f32 v8, -v7, v13, v2
	v_sub_f32_e32 v1, v1, v3
	v_cndmask_b32_e64 v3, v13, v14, s[4:5]
	v_cmp_lt_f32_e64 s[4:5], 0, v8
	v_cndmask_b32_e64 v3, v3, v7, s[4:5]
	v_mul_f32_e32 v7, 0x37800000, v3
	v_cndmask_b32_e32 v3, v3, v7, vcc
	v_mov_b32_e32 v7, 0x260
	v_mul_f32_e32 v1, 0.5, v1
	v_cmp_class_f32_e32 vcc, v2, v7
	v_mul_f32_e32 v1, v10, v1
	v_cndmask_b32_e32 v2, v3, v2, vcc
	v_div_scale_f32 v3, s[4:5], v2, v2, v1
	v_div_scale_f32 v7, vcc, v1, v2, v1
	v_rcp_f32_e32 v8, v3
	v_fma_f32 v10, -v3, v8, 1.0
	v_fmac_f32_e32 v8, v10, v8
	v_mul_f32_e32 v10, v7, v8
	v_fma_f32 v11, -v3, v10, v7
	v_fmac_f32_e32 v10, v11, v8
	v_fma_f32 v3, -v3, v10, v7
	v_div_fmas_f32 v3, v3, v8, v10
	v_div_fixup_f32 v7, v3, v2, v1
.LBB13_15:
	s_or_b64 exec, exec, s[14:15]
	s_mov_b32 s4, 0x41000000
	v_cmp_le_f32_e64 s[4:5], |v4|, s4
	s_and_saveexec_b64 s[14:15], s[4:5]
	s_xor_b64 s[4:5], exec, s[14:15]
	s_cbranch_execz .LBB13_17
; %bb.16:
	v_fma_f32 v1, |v4|, 0.5, -2.0
	v_mov_b32_e32 v2, 0x24199b15
	v_fmac_f32_e32 v2, 0xa2a2e5b9, v1
	v_mov_b32_e32 v3, 0x22a2e5b9
	v_fmac_f32_e32 v3, v1, v2
	v_add_f32_e32 v3, 0xa58c275c, v3
	v_fma_f32 v2, v1, v3, -v2
	v_add_f32_e32 v2, 0x26f736c5, v2
	v_fma_f32 v3, v1, v2, -v3
	;; [unrolled: 2-line block ×22, first 2 shown]
	v_add_f32_e32 v3, 0xbcc274f8, v3
	s_mov_b32 s14, 0x3fb8aa3b
	v_fma_f32 v2, v1, v3, -v2
	v_mul_f32_e64 v8, |v4|, s14
	v_add_f32_e32 v2, 0x3d49f456, v2
	v_rndne_f32_e32 v10, v8
	v_fma_f32 v3, v1, v2, -v3
	v_sub_f32_e32 v11, v8, v10
	v_fma_f32 v8, |v4|, s14, -v8
	s_mov_b32 s14, 0x32a5705f
	v_add_f32_e32 v3, 0xbdc25b82, v3
	v_fma_f32 v8, |v4|, s14, v8
	v_fma_f32 v2, v1, v3, -v2
	v_add_f32_e32 v8, v11, v8
	v_add_f32_e32 v2, 0x3e2fbd64, v2
	v_exp_f32_e32 v8, v8
	v_cvt_i32_f32_e32 v10, v10
	v_fma_f32 v3, v1, v2, -v3
	v_add_f32_e32 v3, 0xbe9bff5e, v3
	v_fma_f32 v1, v1, v3, -v2
	s_mov_b32 s14, 0xc2ce8ed0
	v_add_f32_e32 v1, 0x3f2d4275, v1
	v_ldexp_f32 v3, v8, v10
	v_cmp_nlt_f32_e64 vcc, |v4|, s14
	s_mov_b32 s14, 0x42b17218
	v_cndmask_b32_e32 v3, 0, v3, vcc
	v_mov_b32_e32 v8, 0x7f800000
	v_cmp_ngt_f32_e64 vcc, |v4|, s14
	v_sub_f32_e32 v1, v1, v2
	v_cndmask_b32_e32 v3, v8, v3, vcc
	v_mul_f32_e32 v1, 0.5, v1
	v_mul_f32_e32 v8, v3, v1
                                        ; implicit-def: $vgpr1_vgpr2_vgpr3_vgpr4
.LBB13_17:
	s_andn2_saveexec_b64 s[14:15], s[4:5]
	s_cbranch_execz .LBB13_19
; %bb.18:
	v_and_b32_e32 v1, 0x7fffffff, v4
	s_mov_b32 s16, 0x42000000
	v_div_scale_f32 v2, s[4:5], v1, v1, s16
	v_div_scale_f32 v1, vcc, s16, v1, s16
	s_mov_b32 s4, 0x3fb8aa3b
	v_mul_f32_e64 v10, |v4|, s4
	s_mov_b32 s5, 0x32a5705f
	v_rndne_f32_e32 v13, v10
	v_fma_f32 v14, |v4|, s4, -v10
	s_mov_b32 s19, 0xf800000
	s_mov_b32 s20, 0x4f800000
	v_sub_f32_e32 v10, v10, v13
	v_mul_f32_e64 v12, |v4|, s20
	v_mov_b32_e32 v3, 0xa2b236d3
	v_mov_b32_e32 v8, 0x23056dbb
	s_mov_b32 s17, 0xc2ce8ed0
	v_rcp_f32_e32 v11, v2
	s_mov_b32 s18, 0x42b17218
	v_fma_f32 v15, -v2, v11, 1.0
	v_fmac_f32_e32 v11, v15, v11
	v_mul_f32_e32 v15, v1, v11
	v_fma_f32 v16, -v2, v15, v1
	v_fmac_f32_e32 v15, v16, v11
	v_fma_f32 v1, -v2, v15, v1
	v_div_fmas_f32 v1, v1, v11, v15
	v_fma_f32 v11, |v4|, s5, v14
	v_cmp_lt_f32_e64 vcc, |v4|, s19
	v_add_f32_e32 v10, v10, v11
	v_cndmask_b32_e64 v2, |v4|, v12, vcc
	v_cvt_i32_f32_e32 v12, v13
	v_exp_f32_e32 v10, v10
	v_cmp_nlt_f32_e64 s[4:5], |v4|, s17
	v_sqrt_f32_e32 v13, v2
	v_mov_b32_e32 v11, 0x7f800000
	v_ldexp_f32 v10, v10, v12
	v_cndmask_b32_e64 v10, 0, v10, s[4:5]
	v_cmp_ngt_f32_e64 s[4:5], |v4|, s18
	v_add_u32_e32 v14, -1, v13
	v_fma_f32 v15, -v14, v13, v2
	v_cndmask_b32_e64 v10, v11, v10, s[4:5]
	v_div_fixup_f32 v1, v1, |v4|, s16
	v_add_f32_e32 v1, -2.0, v1
	v_fmac_f32_e32 v3, 0xa3056dbb, v1
	v_fmac_f32_e32 v8, v1, v3
	v_add_f32_e32 v4, 0x244df0c1, v8
	v_fma_f32 v3, v1, v4, -v3
	v_add_f32_e32 v3, 0x241f9ee8, v3
	v_fma_f32 v4, v1, v3, -v4
	;; [unrolled: 2-line block ×22, first 2 shown]
	v_add_f32_e32 v1, 0x3f4df315, v1
	v_sub_f32_e32 v1, v1, v4
	v_add_u32_e32 v4, 1, v13
	v_cmp_ge_f32_e64 s[4:5], 0, v15
	v_fma_f32 v8, -v4, v13, v2
	v_cndmask_b32_e64 v3, v13, v14, s[4:5]
	v_cmp_lt_f32_e64 s[4:5], 0, v8
	v_cndmask_b32_e64 v3, v3, v4, s[4:5]
	v_mul_f32_e32 v4, 0x37800000, v3
	v_cndmask_b32_e32 v3, v3, v4, vcc
	v_mov_b32_e32 v4, 0x260
	v_mul_f32_e32 v1, 0.5, v1
	v_cmp_class_f32_e32 vcc, v2, v4
	v_mul_f32_e32 v1, v10, v1
	v_cndmask_b32_e32 v2, v3, v2, vcc
	v_div_scale_f32 v3, s[4:5], v2, v2, v1
	v_div_scale_f32 v4, vcc, v1, v2, v1
	v_rcp_f32_e32 v8, v3
	v_fma_f32 v10, -v3, v8, 1.0
	v_fmac_f32_e32 v8, v10, v8
	v_mul_f32_e32 v10, v4, v8
	v_fma_f32 v11, -v3, v10, v4
	v_fmac_f32_e32 v10, v11, v8
	v_fma_f32 v3, -v3, v10, v4
	v_div_fmas_f32 v3, v3, v8, v10
	v_div_fixup_f32 v8, v3, v2, v1
.LBB13_19:
	s_or_b64 exec, exec, s[14:15]
	s_add_u32 s4, s8, s12
	s_addc_u32 s5, s9, s13
	global_store_dwordx4 v9, v[5:8], s[4:5]
	s_branch .LBB13_2
.LBB13_20:
	s_getpc_b64 s[4:5]
	s_add_u32 s4, s4, _ZN2at6native25elementwise_kernel_helperILb0EZZZNS0_12_GLOBAL__N_130modified_bessel_i0_kernel_cudaERNS_18TensorIteratorBaseEENKUlvE_clEvENKUlvE0_clEvEUlfE_NS0_6memory8policies11unroll_baseILi256ESt5arrayIPcLm2EE23TrivialOffsetCalculatorILi1EjESF_NS8_15LoadWithoutCastENS8_16StoreWithoutCastELi4ELi1EEEEEvT0_T1_@rel32@lo+4
	s_addc_u32 s5, s5, _ZN2at6native25elementwise_kernel_helperILb0EZZZNS0_12_GLOBAL__N_130modified_bessel_i0_kernel_cudaERNS_18TensorIteratorBaseEENKUlvE_clEvENKUlvE0_clEvEUlfE_NS0_6memory8policies11unroll_baseILi256ESt5arrayIPcLm2EE23TrivialOffsetCalculatorILi1EjESF_NS8_15LoadWithoutCastENS8_16StoreWithoutCastELi4ELi1EEEEEvT0_T1_@rel32@hi+12
	s_mov_b32 s12, s6
	v_mov_b32_e32 v31, v0
	v_mov_b32_e32 v0, s8
	;; [unrolled: 1-line block ×6, first 2 shown]
	s_swappc_b64 s[30:31], s[4:5]
	s_endpgm
	.section	.rodata,"a",@progbits
	.p2align	6, 0x0
	.amdhsa_kernel _ZN2at6native29vectorized_elementwise_kernelILi4EZZZNS0_12_GLOBAL__N_130modified_bessel_i0_kernel_cudaERNS_18TensorIteratorBaseEENKUlvE_clEvENKUlvE0_clEvEUlfE_St5arrayIPcLm2EEEEviT0_T1_
		.amdhsa_group_segment_fixed_size 0
		.amdhsa_private_segment_fixed_size 0
		.amdhsa_kernarg_size 24
		.amdhsa_user_sgpr_count 6
		.amdhsa_user_sgpr_private_segment_buffer 1
		.amdhsa_user_sgpr_dispatch_ptr 0
		.amdhsa_user_sgpr_queue_ptr 0
		.amdhsa_user_sgpr_kernarg_segment_ptr 1
		.amdhsa_user_sgpr_dispatch_id 0
		.amdhsa_user_sgpr_flat_scratch_init 0
		.amdhsa_user_sgpr_private_segment_size 0
		.amdhsa_uses_dynamic_stack 0
		.amdhsa_system_sgpr_private_segment_wavefront_offset 0
		.amdhsa_system_sgpr_workgroup_id_x 1
		.amdhsa_system_sgpr_workgroup_id_y 0
		.amdhsa_system_sgpr_workgroup_id_z 0
		.amdhsa_system_sgpr_workgroup_info 0
		.amdhsa_system_vgpr_workitem_id 0
		.amdhsa_next_free_vgpr 32
		.amdhsa_next_free_sgpr 33
		.amdhsa_reserve_vcc 1
		.amdhsa_reserve_flat_scratch 0
		.amdhsa_float_round_mode_32 0
		.amdhsa_float_round_mode_16_64 0
		.amdhsa_float_denorm_mode_32 3
		.amdhsa_float_denorm_mode_16_64 3
		.amdhsa_dx10_clamp 1
		.amdhsa_ieee_mode 1
		.amdhsa_fp16_overflow 0
		.amdhsa_exception_fp_ieee_invalid_op 0
		.amdhsa_exception_fp_denorm_src 0
		.amdhsa_exception_fp_ieee_div_zero 0
		.amdhsa_exception_fp_ieee_overflow 0
		.amdhsa_exception_fp_ieee_underflow 0
		.amdhsa_exception_fp_ieee_inexact 0
		.amdhsa_exception_int_div_zero 0
	.end_amdhsa_kernel
	.section	.text._ZN2at6native29vectorized_elementwise_kernelILi4EZZZNS0_12_GLOBAL__N_130modified_bessel_i0_kernel_cudaERNS_18TensorIteratorBaseEENKUlvE_clEvENKUlvE0_clEvEUlfE_St5arrayIPcLm2EEEEviT0_T1_,"axG",@progbits,_ZN2at6native29vectorized_elementwise_kernelILi4EZZZNS0_12_GLOBAL__N_130modified_bessel_i0_kernel_cudaERNS_18TensorIteratorBaseEENKUlvE_clEvENKUlvE0_clEvEUlfE_St5arrayIPcLm2EEEEviT0_T1_,comdat
.Lfunc_end13:
	.size	_ZN2at6native29vectorized_elementwise_kernelILi4EZZZNS0_12_GLOBAL__N_130modified_bessel_i0_kernel_cudaERNS_18TensorIteratorBaseEENKUlvE_clEvENKUlvE0_clEvEUlfE_St5arrayIPcLm2EEEEviT0_T1_, .Lfunc_end13-_ZN2at6native29vectorized_elementwise_kernelILi4EZZZNS0_12_GLOBAL__N_130modified_bessel_i0_kernel_cudaERNS_18TensorIteratorBaseEENKUlvE_clEvENKUlvE0_clEvEUlfE_St5arrayIPcLm2EEEEviT0_T1_
                                        ; -- End function
	.set _ZN2at6native29vectorized_elementwise_kernelILi4EZZZNS0_12_GLOBAL__N_130modified_bessel_i0_kernel_cudaERNS_18TensorIteratorBaseEENKUlvE_clEvENKUlvE0_clEvEUlfE_St5arrayIPcLm2EEEEviT0_T1_.num_vgpr, max(32, .L_ZN2at6native25elementwise_kernel_helperILb0EZZZNS0_12_GLOBAL__N_130modified_bessel_i0_kernel_cudaERNS_18TensorIteratorBaseEENKUlvE_clEvENKUlvE0_clEvEUlfE_NS0_6memory8policies11unroll_baseILi256ESt5arrayIPcLm2EE23TrivialOffsetCalculatorILi1EjESF_NS8_15LoadWithoutCastENS8_16StoreWithoutCastELi4ELi1EEEEEvT0_T1_.num_vgpr)
	.set _ZN2at6native29vectorized_elementwise_kernelILi4EZZZNS0_12_GLOBAL__N_130modified_bessel_i0_kernel_cudaERNS_18TensorIteratorBaseEENKUlvE_clEvENKUlvE0_clEvEUlfE_St5arrayIPcLm2EEEEviT0_T1_.num_agpr, max(0, .L_ZN2at6native25elementwise_kernel_helperILb0EZZZNS0_12_GLOBAL__N_130modified_bessel_i0_kernel_cudaERNS_18TensorIteratorBaseEENKUlvE_clEvENKUlvE0_clEvEUlfE_NS0_6memory8policies11unroll_baseILi256ESt5arrayIPcLm2EE23TrivialOffsetCalculatorILi1EjESF_NS8_15LoadWithoutCastENS8_16StoreWithoutCastELi4ELi1EEEEEvT0_T1_.num_agpr)
	.set _ZN2at6native29vectorized_elementwise_kernelILi4EZZZNS0_12_GLOBAL__N_130modified_bessel_i0_kernel_cudaERNS_18TensorIteratorBaseEENKUlvE_clEvENKUlvE0_clEvEUlfE_St5arrayIPcLm2EEEEviT0_T1_.numbered_sgpr, max(33, .L_ZN2at6native25elementwise_kernel_helperILb0EZZZNS0_12_GLOBAL__N_130modified_bessel_i0_kernel_cudaERNS_18TensorIteratorBaseEENKUlvE_clEvENKUlvE0_clEvEUlfE_NS0_6memory8policies11unroll_baseILi256ESt5arrayIPcLm2EE23TrivialOffsetCalculatorILi1EjESF_NS8_15LoadWithoutCastENS8_16StoreWithoutCastELi4ELi1EEEEEvT0_T1_.numbered_sgpr)
	.set _ZN2at6native29vectorized_elementwise_kernelILi4EZZZNS0_12_GLOBAL__N_130modified_bessel_i0_kernel_cudaERNS_18TensorIteratorBaseEENKUlvE_clEvENKUlvE0_clEvEUlfE_St5arrayIPcLm2EEEEviT0_T1_.num_named_barrier, max(0, .L_ZN2at6native25elementwise_kernel_helperILb0EZZZNS0_12_GLOBAL__N_130modified_bessel_i0_kernel_cudaERNS_18TensorIteratorBaseEENKUlvE_clEvENKUlvE0_clEvEUlfE_NS0_6memory8policies11unroll_baseILi256ESt5arrayIPcLm2EE23TrivialOffsetCalculatorILi1EjESF_NS8_15LoadWithoutCastENS8_16StoreWithoutCastELi4ELi1EEEEEvT0_T1_.num_named_barrier)
	.set _ZN2at6native29vectorized_elementwise_kernelILi4EZZZNS0_12_GLOBAL__N_130modified_bessel_i0_kernel_cudaERNS_18TensorIteratorBaseEENKUlvE_clEvENKUlvE0_clEvEUlfE_St5arrayIPcLm2EEEEviT0_T1_.private_seg_size, 0+max(.L_ZN2at6native25elementwise_kernel_helperILb0EZZZNS0_12_GLOBAL__N_130modified_bessel_i0_kernel_cudaERNS_18TensorIteratorBaseEENKUlvE_clEvENKUlvE0_clEvEUlfE_NS0_6memory8policies11unroll_baseILi256ESt5arrayIPcLm2EE23TrivialOffsetCalculatorILi1EjESF_NS8_15LoadWithoutCastENS8_16StoreWithoutCastELi4ELi1EEEEEvT0_T1_.private_seg_size)
	.set _ZN2at6native29vectorized_elementwise_kernelILi4EZZZNS0_12_GLOBAL__N_130modified_bessel_i0_kernel_cudaERNS_18TensorIteratorBaseEENKUlvE_clEvENKUlvE0_clEvEUlfE_St5arrayIPcLm2EEEEviT0_T1_.uses_vcc, or(1, .L_ZN2at6native25elementwise_kernel_helperILb0EZZZNS0_12_GLOBAL__N_130modified_bessel_i0_kernel_cudaERNS_18TensorIteratorBaseEENKUlvE_clEvENKUlvE0_clEvEUlfE_NS0_6memory8policies11unroll_baseILi256ESt5arrayIPcLm2EE23TrivialOffsetCalculatorILi1EjESF_NS8_15LoadWithoutCastENS8_16StoreWithoutCastELi4ELi1EEEEEvT0_T1_.uses_vcc)
	.set _ZN2at6native29vectorized_elementwise_kernelILi4EZZZNS0_12_GLOBAL__N_130modified_bessel_i0_kernel_cudaERNS_18TensorIteratorBaseEENKUlvE_clEvENKUlvE0_clEvEUlfE_St5arrayIPcLm2EEEEviT0_T1_.uses_flat_scratch, or(0, .L_ZN2at6native25elementwise_kernel_helperILb0EZZZNS0_12_GLOBAL__N_130modified_bessel_i0_kernel_cudaERNS_18TensorIteratorBaseEENKUlvE_clEvENKUlvE0_clEvEUlfE_NS0_6memory8policies11unroll_baseILi256ESt5arrayIPcLm2EE23TrivialOffsetCalculatorILi1EjESF_NS8_15LoadWithoutCastENS8_16StoreWithoutCastELi4ELi1EEEEEvT0_T1_.uses_flat_scratch)
	.set _ZN2at6native29vectorized_elementwise_kernelILi4EZZZNS0_12_GLOBAL__N_130modified_bessel_i0_kernel_cudaERNS_18TensorIteratorBaseEENKUlvE_clEvENKUlvE0_clEvEUlfE_St5arrayIPcLm2EEEEviT0_T1_.has_dyn_sized_stack, or(0, .L_ZN2at6native25elementwise_kernel_helperILb0EZZZNS0_12_GLOBAL__N_130modified_bessel_i0_kernel_cudaERNS_18TensorIteratorBaseEENKUlvE_clEvENKUlvE0_clEvEUlfE_NS0_6memory8policies11unroll_baseILi256ESt5arrayIPcLm2EE23TrivialOffsetCalculatorILi1EjESF_NS8_15LoadWithoutCastENS8_16StoreWithoutCastELi4ELi1EEEEEvT0_T1_.has_dyn_sized_stack)
	.set _ZN2at6native29vectorized_elementwise_kernelILi4EZZZNS0_12_GLOBAL__N_130modified_bessel_i0_kernel_cudaERNS_18TensorIteratorBaseEENKUlvE_clEvENKUlvE0_clEvEUlfE_St5arrayIPcLm2EEEEviT0_T1_.has_recursion, or(0, .L_ZN2at6native25elementwise_kernel_helperILb0EZZZNS0_12_GLOBAL__N_130modified_bessel_i0_kernel_cudaERNS_18TensorIteratorBaseEENKUlvE_clEvENKUlvE0_clEvEUlfE_NS0_6memory8policies11unroll_baseILi256ESt5arrayIPcLm2EE23TrivialOffsetCalculatorILi1EjESF_NS8_15LoadWithoutCastENS8_16StoreWithoutCastELi4ELi1EEEEEvT0_T1_.has_recursion)
	.set _ZN2at6native29vectorized_elementwise_kernelILi4EZZZNS0_12_GLOBAL__N_130modified_bessel_i0_kernel_cudaERNS_18TensorIteratorBaseEENKUlvE_clEvENKUlvE0_clEvEUlfE_St5arrayIPcLm2EEEEviT0_T1_.has_indirect_call, or(0, .L_ZN2at6native25elementwise_kernel_helperILb0EZZZNS0_12_GLOBAL__N_130modified_bessel_i0_kernel_cudaERNS_18TensorIteratorBaseEENKUlvE_clEvENKUlvE0_clEvEUlfE_NS0_6memory8policies11unroll_baseILi256ESt5arrayIPcLm2EE23TrivialOffsetCalculatorILi1EjESF_NS8_15LoadWithoutCastENS8_16StoreWithoutCastELi4ELi1EEEEEvT0_T1_.has_indirect_call)
	.section	.AMDGPU.csdata,"",@progbits
; Kernel info:
; codeLenInByte = 6012
; TotalNumSgprs: 37
; NumVgprs: 32
; ScratchSize: 0
; MemoryBound: 0
; FloatMode: 240
; IeeeMode: 1
; LDSByteSize: 0 bytes/workgroup (compile time only)
; SGPRBlocks: 4
; VGPRBlocks: 7
; NumSGPRsForWavesPerEU: 37
; NumVGPRsForWavesPerEU: 32
; Occupancy: 8
; WaveLimiterHint : 0
; COMPUTE_PGM_RSRC2:SCRATCH_EN: 0
; COMPUTE_PGM_RSRC2:USER_SGPR: 6
; COMPUTE_PGM_RSRC2:TRAP_HANDLER: 0
; COMPUTE_PGM_RSRC2:TGID_X_EN: 1
; COMPUTE_PGM_RSRC2:TGID_Y_EN: 0
; COMPUTE_PGM_RSRC2:TGID_Z_EN: 0
; COMPUTE_PGM_RSRC2:TIDIG_COMP_CNT: 0
	.section	.text._ZN2at6native29vectorized_elementwise_kernelILi2EZZZNS0_12_GLOBAL__N_130modified_bessel_i0_kernel_cudaERNS_18TensorIteratorBaseEENKUlvE_clEvENKUlvE0_clEvEUlfE_St5arrayIPcLm2EEEEviT0_T1_,"axG",@progbits,_ZN2at6native29vectorized_elementwise_kernelILi2EZZZNS0_12_GLOBAL__N_130modified_bessel_i0_kernel_cudaERNS_18TensorIteratorBaseEENKUlvE_clEvENKUlvE0_clEvEUlfE_St5arrayIPcLm2EEEEviT0_T1_,comdat
	.globl	_ZN2at6native29vectorized_elementwise_kernelILi2EZZZNS0_12_GLOBAL__N_130modified_bessel_i0_kernel_cudaERNS_18TensorIteratorBaseEENKUlvE_clEvENKUlvE0_clEvEUlfE_St5arrayIPcLm2EEEEviT0_T1_ ; -- Begin function _ZN2at6native29vectorized_elementwise_kernelILi2EZZZNS0_12_GLOBAL__N_130modified_bessel_i0_kernel_cudaERNS_18TensorIteratorBaseEENKUlvE_clEvENKUlvE0_clEvEUlfE_St5arrayIPcLm2EEEEviT0_T1_
	.p2align	8
	.type	_ZN2at6native29vectorized_elementwise_kernelILi2EZZZNS0_12_GLOBAL__N_130modified_bessel_i0_kernel_cudaERNS_18TensorIteratorBaseEENKUlvE_clEvENKUlvE0_clEvEUlfE_St5arrayIPcLm2EEEEviT0_T1_,@function
_ZN2at6native29vectorized_elementwise_kernelILi2EZZZNS0_12_GLOBAL__N_130modified_bessel_i0_kernel_cudaERNS_18TensorIteratorBaseEENKUlvE_clEvENKUlvE0_clEvEUlfE_St5arrayIPcLm2EEEEviT0_T1_: ; @_ZN2at6native29vectorized_elementwise_kernelILi2EZZZNS0_12_GLOBAL__N_130modified_bessel_i0_kernel_cudaERNS_18TensorIteratorBaseEENKUlvE_clEvENKUlvE0_clEvEUlfE_St5arrayIPcLm2EEEEviT0_T1_
; %bb.0:
	s_add_u32 s0, s0, s7
	s_load_dword s7, s[4:5], 0x0
	s_load_dwordx4 s[8:11], s[4:5], 0x8
	s_addc_u32 s1, s1, 0
	s_lshl_b32 s4, s6, 10
	s_mov_b64 s[12:13], -1
	s_waitcnt lgkmcnt(0)
	s_sub_i32 s7, s7, s4
	s_cmpk_gt_i32 s7, 0x3ff
	s_mov_b32 s32, 0
	s_cbranch_scc1 .LBB14_3
; %bb.1:
	s_and_b64 vcc, exec, s[12:13]
	s_cbranch_vccnz .LBB14_20
.LBB14_2:
	s_endpgm
.LBB14_3:
	s_ashr_i32 s5, s4, 31
	s_lshl_b64 s[12:13], s[4:5], 2
	s_add_u32 s4, s10, s12
	s_addc_u32 s5, s11, s13
	v_lshlrev_b32_e32 v7, 3, v0
	global_load_dwordx2 v[5:6], v7, s[4:5]
	global_load_dwordx2 v[1:2], v7, s[4:5] offset:2048
	s_mov_b32 s4, 0x41000000
                                        ; implicit-def: $vgpr3
	s_waitcnt vmcnt(1)
	v_cmp_le_f32_e64 s[4:5], |v5|, s4
	s_and_saveexec_b64 s[14:15], s[4:5]
	s_xor_b64 s[4:5], exec, s[14:15]
	s_cbranch_execz .LBB14_5
; %bb.4:
	v_fma_f32 v3, |v5|, 0.5, -2.0
	v_mov_b32_e32 v4, 0x24199b15
	v_fmac_f32_e32 v4, 0xa2a2e5b9, v3
	v_mov_b32_e32 v8, 0x22a2e5b9
	v_fmac_f32_e32 v8, v3, v4
	v_add_f32_e32 v8, 0xa58c275c, v8
	v_fma_f32 v4, v3, v8, -v4
	v_add_f32_e32 v4, 0x26f736c5, v4
	v_fma_f32 v8, v3, v4, -v8
	;; [unrolled: 2-line block ×22, first 2 shown]
	v_add_f32_e32 v8, 0xbcc274f8, v8
	s_mov_b32 s14, 0x3fb8aa3b
	v_fma_f32 v4, v3, v8, -v4
	v_mul_f32_e64 v9, |v5|, s14
	v_add_f32_e32 v4, 0x3d49f456, v4
	v_rndne_f32_e32 v10, v9
	v_fma_f32 v8, v3, v4, -v8
	v_sub_f32_e32 v11, v9, v10
	v_fma_f32 v9, |v5|, s14, -v9
	s_mov_b32 s14, 0x32a5705f
	v_add_f32_e32 v8, 0xbdc25b82, v8
	v_fma_f32 v9, |v5|, s14, v9
	v_fma_f32 v4, v3, v8, -v4
	v_add_f32_e32 v9, v11, v9
	v_add_f32_e32 v4, 0x3e2fbd64, v4
	v_exp_f32_e32 v9, v9
	v_cvt_i32_f32_e32 v10, v10
	v_fma_f32 v8, v3, v4, -v8
	v_add_f32_e32 v8, 0xbe9bff5e, v8
	v_fma_f32 v3, v3, v8, -v4
	s_mov_b32 s14, 0xc2ce8ed0
	v_add_f32_e32 v3, 0x3f2d4275, v3
	v_ldexp_f32 v8, v9, v10
	v_cmp_nlt_f32_e64 vcc, |v5|, s14
	s_mov_b32 s14, 0x42b17218
	v_cndmask_b32_e32 v8, 0, v8, vcc
	v_mov_b32_e32 v9, 0x7f800000
	v_cmp_ngt_f32_e64 vcc, |v5|, s14
	v_sub_f32_e32 v3, v3, v4
	v_cndmask_b32_e32 v8, v9, v8, vcc
	v_mul_f32_e32 v3, 0.5, v3
	v_mul_f32_e32 v3, v8, v3
.LBB14_5:
	s_andn2_saveexec_b64 s[14:15], s[4:5]
	s_cbranch_execz .LBB14_7
; %bb.6:
	v_and_b32_e32 v3, 0x7fffffff, v5
	s_mov_b32 s16, 0x42000000
	v_div_scale_f32 v4, s[4:5], v3, v3, s16
	v_div_scale_f32 v3, vcc, s16, v3, s16
	s_mov_b32 s4, 0x3fb8aa3b
	v_mul_f32_e64 v10, |v5|, s4
	s_mov_b32 s5, 0x32a5705f
	v_rndne_f32_e32 v13, v10
	v_fma_f32 v14, |v5|, s4, -v10
	s_mov_b32 s19, 0xf800000
	s_mov_b32 s20, 0x4f800000
	v_sub_f32_e32 v10, v10, v13
	v_mul_f32_e64 v12, |v5|, s20
	v_mov_b32_e32 v8, 0xa2b236d3
	v_mov_b32_e32 v9, 0x23056dbb
	s_mov_b32 s17, 0xc2ce8ed0
	v_rcp_f32_e32 v11, v4
	s_mov_b32 s18, 0x42b17218
	v_fma_f32 v15, -v4, v11, 1.0
	v_fmac_f32_e32 v11, v15, v11
	v_mul_f32_e32 v15, v3, v11
	v_fma_f32 v16, -v4, v15, v3
	v_fmac_f32_e32 v15, v16, v11
	v_fma_f32 v3, -v4, v15, v3
	v_div_fmas_f32 v3, v3, v11, v15
	v_fma_f32 v11, |v5|, s5, v14
	v_cmp_lt_f32_e64 vcc, |v5|, s19
	v_add_f32_e32 v10, v10, v11
	v_cndmask_b32_e64 v4, |v5|, v12, vcc
	v_cvt_i32_f32_e32 v12, v13
	v_exp_f32_e32 v10, v10
	v_cmp_nlt_f32_e64 s[4:5], |v5|, s17
	v_sqrt_f32_e32 v13, v4
	v_mov_b32_e32 v11, 0x7f800000
	v_ldexp_f32 v10, v10, v12
	v_cndmask_b32_e64 v10, 0, v10, s[4:5]
	v_cmp_ngt_f32_e64 s[4:5], |v5|, s18
	v_add_u32_e32 v14, -1, v13
	v_fma_f32 v15, -v14, v13, v4
	v_cndmask_b32_e64 v10, v11, v10, s[4:5]
	v_div_fixup_f32 v3, v3, |v5|, s16
	v_add_f32_e32 v3, -2.0, v3
	v_fmac_f32_e32 v8, 0xa3056dbb, v3
	v_fmac_f32_e32 v9, v3, v8
	v_add_f32_e32 v5, 0x244df0c1, v9
	v_fma_f32 v8, v3, v5, -v8
	v_add_f32_e32 v8, 0x241f9ee8, v8
	v_fma_f32 v5, v3, v8, -v5
	;; [unrolled: 2-line block ×22, first 2 shown]
	v_add_u32_e32 v8, 1, v13
	v_add_f32_e32 v3, 0x3f4df315, v3
	v_cmp_ge_f32_e64 s[4:5], 0, v15
	v_fma_f32 v9, -v8, v13, v4
	v_sub_f32_e32 v3, v3, v5
	v_cndmask_b32_e64 v5, v13, v14, s[4:5]
	v_cmp_lt_f32_e64 s[4:5], 0, v9
	v_cndmask_b32_e64 v5, v5, v8, s[4:5]
	v_mul_f32_e32 v8, 0x37800000, v5
	v_cndmask_b32_e32 v5, v5, v8, vcc
	v_mov_b32_e32 v8, 0x260
	v_mul_f32_e32 v3, 0.5, v3
	v_cmp_class_f32_e32 vcc, v4, v8
	v_mul_f32_e32 v3, v10, v3
	v_cndmask_b32_e32 v4, v5, v4, vcc
	v_div_scale_f32 v5, s[4:5], v4, v4, v3
	v_div_scale_f32 v8, vcc, v3, v4, v3
	v_rcp_f32_e32 v9, v5
	v_fma_f32 v10, -v5, v9, 1.0
	v_fmac_f32_e32 v9, v10, v9
	v_mul_f32_e32 v10, v8, v9
	v_fma_f32 v11, -v5, v10, v8
	v_fmac_f32_e32 v10, v11, v9
	v_fma_f32 v5, -v5, v10, v8
	v_div_fmas_f32 v5, v5, v9, v10
	v_div_fixup_f32 v3, v5, v4, v3
.LBB14_7:
	s_or_b64 exec, exec, s[14:15]
	s_mov_b32 s4, 0x41000000
	v_cmp_le_f32_e64 s[4:5], |v6|, s4
	s_and_saveexec_b64 s[14:15], s[4:5]
	s_xor_b64 s[4:5], exec, s[14:15]
	s_cbranch_execz .LBB14_9
; %bb.8:
	v_fma_f32 v4, |v6|, 0.5, -2.0
	v_mov_b32_e32 v5, 0x24199b15
	v_fmac_f32_e32 v5, 0xa2a2e5b9, v4
	v_mov_b32_e32 v8, 0x22a2e5b9
	v_fmac_f32_e32 v8, v4, v5
	v_add_f32_e32 v8, 0xa58c275c, v8
	v_fma_f32 v5, v4, v8, -v5
	v_add_f32_e32 v5, 0x26f736c5, v5
	v_fma_f32 v8, v4, v5, -v8
	;; [unrolled: 2-line block ×22, first 2 shown]
	v_add_f32_e32 v8, 0xbcc274f8, v8
	s_mov_b32 s14, 0x3fb8aa3b
	v_fma_f32 v5, v4, v8, -v5
	v_mul_f32_e64 v9, |v6|, s14
	v_add_f32_e32 v5, 0x3d49f456, v5
	v_rndne_f32_e32 v10, v9
	v_fma_f32 v8, v4, v5, -v8
	v_sub_f32_e32 v11, v9, v10
	v_fma_f32 v9, |v6|, s14, -v9
	s_mov_b32 s14, 0x32a5705f
	v_add_f32_e32 v8, 0xbdc25b82, v8
	v_fma_f32 v9, |v6|, s14, v9
	v_fma_f32 v5, v4, v8, -v5
	v_add_f32_e32 v9, v11, v9
	v_add_f32_e32 v5, 0x3e2fbd64, v5
	v_exp_f32_e32 v9, v9
	v_cvt_i32_f32_e32 v10, v10
	v_fma_f32 v8, v4, v5, -v8
	v_add_f32_e32 v8, 0xbe9bff5e, v8
	v_fma_f32 v4, v4, v8, -v5
	s_mov_b32 s14, 0xc2ce8ed0
	v_add_f32_e32 v4, 0x3f2d4275, v4
	v_ldexp_f32 v8, v9, v10
	v_cmp_nlt_f32_e64 vcc, |v6|, s14
	s_mov_b32 s14, 0x42b17218
	v_cndmask_b32_e32 v8, 0, v8, vcc
	v_mov_b32_e32 v9, 0x7f800000
	v_cmp_ngt_f32_e64 vcc, |v6|, s14
	v_sub_f32_e32 v4, v4, v5
	v_cndmask_b32_e32 v6, v9, v8, vcc
	v_mul_f32_e32 v4, 0.5, v4
	v_mul_f32_e32 v4, v6, v4
                                        ; implicit-def: $vgpr5_vgpr6
.LBB14_9:
	s_andn2_saveexec_b64 s[14:15], s[4:5]
	s_cbranch_execz .LBB14_11
; %bb.10:
	v_and_b32_e32 v4, 0x7fffffff, v6
	s_mov_b32 s16, 0x42000000
	v_div_scale_f32 v5, s[4:5], v4, v4, s16
	v_div_scale_f32 v4, vcc, s16, v4, s16
	s_mov_b32 s4, 0x3fb8aa3b
	v_mul_f32_e64 v10, |v6|, s4
	s_mov_b32 s5, 0x32a5705f
	v_rndne_f32_e32 v13, v10
	v_fma_f32 v14, |v6|, s4, -v10
	s_mov_b32 s19, 0xf800000
	s_mov_b32 s20, 0x4f800000
	v_sub_f32_e32 v10, v10, v13
	v_mul_f32_e64 v12, |v6|, s20
	v_mov_b32_e32 v8, 0xa2b236d3
	v_mov_b32_e32 v9, 0x23056dbb
	s_mov_b32 s17, 0xc2ce8ed0
	v_rcp_f32_e32 v11, v5
	s_mov_b32 s18, 0x42b17218
	v_fma_f32 v15, -v5, v11, 1.0
	v_fmac_f32_e32 v11, v15, v11
	v_mul_f32_e32 v15, v4, v11
	v_fma_f32 v16, -v5, v15, v4
	v_fmac_f32_e32 v15, v16, v11
	v_fma_f32 v4, -v5, v15, v4
	v_div_fmas_f32 v4, v4, v11, v15
	v_fma_f32 v11, |v6|, s5, v14
	v_cmp_lt_f32_e64 vcc, |v6|, s19
	v_add_f32_e32 v10, v10, v11
	v_cndmask_b32_e64 v5, |v6|, v12, vcc
	v_cvt_i32_f32_e32 v12, v13
	v_exp_f32_e32 v10, v10
	v_cmp_nlt_f32_e64 s[4:5], |v6|, s17
	v_sqrt_f32_e32 v13, v5
	v_mov_b32_e32 v11, 0x7f800000
	v_ldexp_f32 v10, v10, v12
	v_cndmask_b32_e64 v10, 0, v10, s[4:5]
	v_cmp_ngt_f32_e64 s[4:5], |v6|, s18
	v_add_u32_e32 v14, -1, v13
	v_fma_f32 v15, -v14, v13, v5
	v_cndmask_b32_e64 v10, v11, v10, s[4:5]
	v_div_fixup_f32 v4, v4, |v6|, s16
	v_add_f32_e32 v4, -2.0, v4
	v_fmac_f32_e32 v8, 0xa3056dbb, v4
	v_fmac_f32_e32 v9, v4, v8
	v_add_f32_e32 v6, 0x244df0c1, v9
	v_fma_f32 v8, v4, v6, -v8
	v_add_f32_e32 v8, 0x241f9ee8, v8
	v_fma_f32 v6, v4, v8, -v6
	;; [unrolled: 2-line block ×22, first 2 shown]
	v_add_u32_e32 v8, 1, v13
	v_add_f32_e32 v4, 0x3f4df315, v4
	v_cmp_ge_f32_e64 s[4:5], 0, v15
	v_fma_f32 v9, -v8, v13, v5
	v_sub_f32_e32 v4, v4, v6
	v_cndmask_b32_e64 v6, v13, v14, s[4:5]
	v_cmp_lt_f32_e64 s[4:5], 0, v9
	v_cndmask_b32_e64 v6, v6, v8, s[4:5]
	v_mul_f32_e32 v8, 0x37800000, v6
	v_cndmask_b32_e32 v6, v6, v8, vcc
	v_mov_b32_e32 v8, 0x260
	v_mul_f32_e32 v4, 0.5, v4
	v_cmp_class_f32_e32 vcc, v5, v8
	v_mul_f32_e32 v4, v10, v4
	v_cndmask_b32_e32 v5, v6, v5, vcc
	v_div_scale_f32 v6, s[4:5], v5, v5, v4
	v_div_scale_f32 v8, vcc, v4, v5, v4
	v_rcp_f32_e32 v9, v6
	v_fma_f32 v10, -v6, v9, 1.0
	v_fmac_f32_e32 v9, v10, v9
	v_mul_f32_e32 v10, v8, v9
	v_fma_f32 v11, -v6, v10, v8
	v_fmac_f32_e32 v10, v11, v9
	v_fma_f32 v6, -v6, v10, v8
	v_div_fmas_f32 v6, v6, v9, v10
	v_div_fixup_f32 v4, v6, v5, v4
.LBB14_11:
	s_or_b64 exec, exec, s[14:15]
	s_mov_b32 s4, 0x41000000
	s_waitcnt vmcnt(0)
	v_cmp_le_f32_e64 s[4:5], |v1|, s4
                                        ; implicit-def: $vgpr5
	s_and_saveexec_b64 s[14:15], s[4:5]
	s_xor_b64 s[4:5], exec, s[14:15]
	s_cbranch_execz .LBB14_13
; %bb.12:
	v_fma_f32 v5, |v1|, 0.5, -2.0
	v_mov_b32_e32 v6, 0x24199b15
	v_fmac_f32_e32 v6, 0xa2a2e5b9, v5
	v_mov_b32_e32 v8, 0x22a2e5b9
	v_fmac_f32_e32 v8, v5, v6
	v_add_f32_e32 v8, 0xa58c275c, v8
	v_fma_f32 v6, v5, v8, -v6
	v_add_f32_e32 v6, 0x26f736c5, v6
	v_fma_f32 v8, v5, v6, -v8
	;; [unrolled: 2-line block ×22, first 2 shown]
	v_add_f32_e32 v8, 0xbcc274f8, v8
	s_mov_b32 s14, 0x3fb8aa3b
	v_fma_f32 v6, v5, v8, -v6
	v_mul_f32_e64 v9, |v1|, s14
	v_add_f32_e32 v6, 0x3d49f456, v6
	v_rndne_f32_e32 v10, v9
	v_fma_f32 v8, v5, v6, -v8
	v_sub_f32_e32 v11, v9, v10
	v_fma_f32 v9, |v1|, s14, -v9
	s_mov_b32 s14, 0x32a5705f
	v_add_f32_e32 v8, 0xbdc25b82, v8
	v_fma_f32 v9, |v1|, s14, v9
	v_fma_f32 v6, v5, v8, -v6
	v_add_f32_e32 v9, v11, v9
	v_add_f32_e32 v6, 0x3e2fbd64, v6
	v_exp_f32_e32 v9, v9
	v_cvt_i32_f32_e32 v10, v10
	v_fma_f32 v8, v5, v6, -v8
	v_add_f32_e32 v8, 0xbe9bff5e, v8
	v_fma_f32 v5, v5, v8, -v6
	s_mov_b32 s14, 0xc2ce8ed0
	v_add_f32_e32 v5, 0x3f2d4275, v5
	v_ldexp_f32 v8, v9, v10
	v_cmp_nlt_f32_e64 vcc, |v1|, s14
	s_mov_b32 s14, 0x42b17218
	v_cndmask_b32_e32 v8, 0, v8, vcc
	v_mov_b32_e32 v9, 0x7f800000
	v_cmp_ngt_f32_e64 vcc, |v1|, s14
	v_sub_f32_e32 v5, v5, v6
	v_cndmask_b32_e32 v8, v9, v8, vcc
	v_mul_f32_e32 v5, 0.5, v5
	v_mul_f32_e32 v5, v8, v5
.LBB14_13:
	s_andn2_saveexec_b64 s[14:15], s[4:5]
	s_cbranch_execz .LBB14_15
; %bb.14:
	v_and_b32_e32 v5, 0x7fffffff, v1
	s_mov_b32 s16, 0x42000000
	v_div_scale_f32 v6, s[4:5], v5, v5, s16
	v_div_scale_f32 v5, vcc, s16, v5, s16
	s_mov_b32 s4, 0x3fb8aa3b
	v_mul_f32_e64 v10, |v1|, s4
	s_mov_b32 s5, 0x32a5705f
	v_rndne_f32_e32 v13, v10
	v_fma_f32 v14, |v1|, s4, -v10
	s_mov_b32 s19, 0xf800000
	s_mov_b32 s20, 0x4f800000
	v_sub_f32_e32 v10, v10, v13
	v_mul_f32_e64 v12, |v1|, s20
	s_mov_b32 s17, 0xc2ce8ed0
	s_mov_b32 s18, 0x42b17218
	v_mov_b32_e32 v8, 0xa2b236d3
	v_rcp_f32_e32 v11, v6
	v_mov_b32_e32 v9, 0x23056dbb
	v_fma_f32 v15, -v6, v11, 1.0
	v_fmac_f32_e32 v11, v15, v11
	v_mul_f32_e32 v15, v5, v11
	v_fma_f32 v16, -v6, v15, v5
	v_fmac_f32_e32 v15, v16, v11
	v_fma_f32 v5, -v6, v15, v5
	v_div_fmas_f32 v5, v5, v11, v15
	v_fma_f32 v11, |v1|, s5, v14
	v_cmp_lt_f32_e64 vcc, |v1|, s19
	v_add_f32_e32 v10, v10, v11
	v_cndmask_b32_e64 v6, |v1|, v12, vcc
	v_cvt_i32_f32_e32 v12, v13
	v_exp_f32_e32 v10, v10
	v_cmp_nlt_f32_e64 s[4:5], |v1|, s17
	v_sqrt_f32_e32 v13, v6
	v_mov_b32_e32 v11, 0x7f800000
	v_ldexp_f32 v10, v10, v12
	v_cndmask_b32_e64 v10, 0, v10, s[4:5]
	v_cmp_ngt_f32_e64 s[4:5], |v1|, s18
	v_add_u32_e32 v14, -1, v13
	v_fma_f32 v15, -v14, v13, v6
	v_cndmask_b32_e64 v10, v11, v10, s[4:5]
	v_div_fixup_f32 v1, v5, |v1|, s16
	v_add_f32_e32 v1, -2.0, v1
	v_fmac_f32_e32 v8, 0xa3056dbb, v1
	v_fmac_f32_e32 v9, v1, v8
	v_add_f32_e32 v5, 0x244df0c1, v9
	v_fma_f32 v8, v1, v5, -v8
	v_add_f32_e32 v8, 0x241f9ee8, v8
	v_fma_f32 v5, v1, v8, -v5
	;; [unrolled: 2-line block ×22, first 2 shown]
	v_add_u32_e32 v8, 1, v13
	v_add_f32_e32 v1, 0x3f4df315, v1
	v_cmp_ge_f32_e64 s[4:5], 0, v15
	v_fma_f32 v9, -v8, v13, v6
	v_sub_f32_e32 v1, v1, v5
	v_cndmask_b32_e64 v5, v13, v14, s[4:5]
	v_cmp_lt_f32_e64 s[4:5], 0, v9
	v_cndmask_b32_e64 v5, v5, v8, s[4:5]
	v_mul_f32_e32 v8, 0x37800000, v5
	v_cndmask_b32_e32 v5, v5, v8, vcc
	v_mov_b32_e32 v8, 0x260
	v_mul_f32_e32 v1, 0.5, v1
	v_cmp_class_f32_e32 vcc, v6, v8
	v_mul_f32_e32 v1, v10, v1
	v_cndmask_b32_e32 v5, v5, v6, vcc
	v_div_scale_f32 v6, s[4:5], v5, v5, v1
	v_div_scale_f32 v8, vcc, v1, v5, v1
	v_rcp_f32_e32 v9, v6
	v_fma_f32 v10, -v6, v9, 1.0
	v_fmac_f32_e32 v9, v10, v9
	v_mul_f32_e32 v10, v8, v9
	v_fma_f32 v11, -v6, v10, v8
	v_fmac_f32_e32 v10, v11, v9
	v_fma_f32 v6, -v6, v10, v8
	v_div_fmas_f32 v6, v6, v9, v10
	v_div_fixup_f32 v5, v6, v5, v1
.LBB14_15:
	s_or_b64 exec, exec, s[14:15]
	s_mov_b32 s4, 0x41000000
	v_cmp_le_f32_e64 s[4:5], |v2|, s4
	s_and_saveexec_b64 s[14:15], s[4:5]
	s_xor_b64 s[4:5], exec, s[14:15]
	s_cbranch_execz .LBB14_17
; %bb.16:
	v_fma_f32 v1, |v2|, 0.5, -2.0
	v_mov_b32_e32 v6, 0x24199b15
	v_fmac_f32_e32 v6, 0xa2a2e5b9, v1
	v_mov_b32_e32 v8, 0x22a2e5b9
	v_fmac_f32_e32 v8, v1, v6
	v_add_f32_e32 v8, 0xa58c275c, v8
	v_fma_f32 v6, v1, v8, -v6
	v_add_f32_e32 v6, 0x26f736c5, v6
	v_fma_f32 v8, v1, v6, -v8
	;; [unrolled: 2-line block ×22, first 2 shown]
	v_add_f32_e32 v8, 0xbcc274f8, v8
	s_mov_b32 s14, 0x3fb8aa3b
	v_fma_f32 v6, v1, v8, -v6
	v_mul_f32_e64 v9, |v2|, s14
	v_add_f32_e32 v6, 0x3d49f456, v6
	v_rndne_f32_e32 v10, v9
	v_fma_f32 v8, v1, v6, -v8
	v_sub_f32_e32 v11, v9, v10
	v_fma_f32 v9, |v2|, s14, -v9
	s_mov_b32 s14, 0x32a5705f
	v_add_f32_e32 v8, 0xbdc25b82, v8
	v_fma_f32 v9, |v2|, s14, v9
	v_fma_f32 v6, v1, v8, -v6
	v_add_f32_e32 v9, v11, v9
	v_add_f32_e32 v6, 0x3e2fbd64, v6
	v_exp_f32_e32 v9, v9
	v_cvt_i32_f32_e32 v10, v10
	v_fma_f32 v8, v1, v6, -v8
	v_add_f32_e32 v8, 0xbe9bff5e, v8
	v_fma_f32 v1, v1, v8, -v6
	s_mov_b32 s14, 0xc2ce8ed0
	v_add_f32_e32 v1, 0x3f2d4275, v1
	v_ldexp_f32 v8, v9, v10
	v_cmp_nlt_f32_e64 vcc, |v2|, s14
	s_mov_b32 s14, 0x42b17218
	v_cndmask_b32_e32 v8, 0, v8, vcc
	v_mov_b32_e32 v9, 0x7f800000
	v_cmp_ngt_f32_e64 vcc, |v2|, s14
	v_sub_f32_e32 v1, v1, v6
	v_cndmask_b32_e32 v2, v9, v8, vcc
	v_mul_f32_e32 v1, 0.5, v1
	v_mul_f32_e32 v6, v2, v1
                                        ; implicit-def: $vgpr1_vgpr2
.LBB14_17:
	s_andn2_saveexec_b64 s[14:15], s[4:5]
	s_cbranch_execz .LBB14_19
; %bb.18:
	v_and_b32_e32 v1, 0x7fffffff, v2
	s_mov_b32 s16, 0x42000000
	v_div_scale_f32 v6, s[4:5], v1, v1, s16
	v_div_scale_f32 v1, vcc, s16, v1, s16
	s_mov_b32 s4, 0x3fb8aa3b
	v_mul_f32_e64 v10, |v2|, s4
	s_mov_b32 s5, 0x32a5705f
	v_rndne_f32_e32 v13, v10
	v_fma_f32 v14, |v2|, s4, -v10
	s_mov_b32 s19, 0xf800000
	s_mov_b32 s20, 0x4f800000
	v_sub_f32_e32 v10, v10, v13
	v_mul_f32_e64 v12, |v2|, s20
	v_mov_b32_e32 v8, 0xa2b236d3
	v_mov_b32_e32 v9, 0x23056dbb
	s_mov_b32 s17, 0xc2ce8ed0
	v_rcp_f32_e32 v11, v6
	s_mov_b32 s18, 0x42b17218
	v_fma_f32 v15, -v6, v11, 1.0
	v_fmac_f32_e32 v11, v15, v11
	v_mul_f32_e32 v15, v1, v11
	v_fma_f32 v16, -v6, v15, v1
	v_fmac_f32_e32 v15, v16, v11
	v_fma_f32 v1, -v6, v15, v1
	v_div_fmas_f32 v1, v1, v11, v15
	v_fma_f32 v11, |v2|, s5, v14
	v_cmp_lt_f32_e64 vcc, |v2|, s19
	v_add_f32_e32 v10, v10, v11
	v_cndmask_b32_e64 v6, |v2|, v12, vcc
	v_cvt_i32_f32_e32 v12, v13
	v_exp_f32_e32 v10, v10
	v_cmp_nlt_f32_e64 s[4:5], |v2|, s17
	v_sqrt_f32_e32 v13, v6
	v_mov_b32_e32 v11, 0x7f800000
	v_ldexp_f32 v10, v10, v12
	v_cndmask_b32_e64 v10, 0, v10, s[4:5]
	v_cmp_ngt_f32_e64 s[4:5], |v2|, s18
	v_add_u32_e32 v14, -1, v13
	v_fma_f32 v15, -v14, v13, v6
	v_cndmask_b32_e64 v10, v11, v10, s[4:5]
	v_div_fixup_f32 v1, v1, |v2|, s16
	v_add_f32_e32 v1, -2.0, v1
	v_fmac_f32_e32 v8, 0xa3056dbb, v1
	v_fmac_f32_e32 v9, v1, v8
	v_add_f32_e32 v2, 0x244df0c1, v9
	v_fma_f32 v8, v1, v2, -v8
	v_add_f32_e32 v8, 0x241f9ee8, v8
	v_fma_f32 v2, v1, v8, -v2
	v_add_f32_e32 v2, 0xa5a3005d, v2
	v_fma_f32 v8, v1, v2, -v8
	v_add_f32_e32 v8, 0xa5c5773f, v8
	v_fma_f32 v2, v1, v8, -v2
	v_add_f32_e32 v2, 0x26ff73ed, v2
	v_fma_f32 v8, v1, v2, -v8
	v_add_f32_e32 v8, 0x2789548d, v8
	v_fma_f32 v2, v1, v8, -v2
	v_add_f32_e32 v2, 0xa82c1ff4, v2
	v_fma_f32 v8, v1, v2, -v8
	v_add_f32_e32 v8, 0xa93aecce, v8
	v_fma_f32 v2, v1, v8, -v2
	v_add_f32_e32 v2, 0x288ab7f8, v2
	v_fma_f32 v8, v1, v2, -v8
	v_add_f32_e32 v8, 0x2ad8e463, v8
	v_fma_f32 v2, v1, v8, -v2
	v_add_f32_e32 v2, 0x2b4a1a40, v2
	v_fma_f32 v8, v1, v2, -v8
	v_add_f32_e32 v8, 0xabfc8218, v8
	v_fma_f32 v2, v1, v8, -v2
	v_add_f32_e32 v2, 0xad687eba, v2
	v_fma_f32 v8, v1, v2, -v8
	v_add_f32_e32 v8, 0xae0a88e8, v8
	v_fma_f32 v2, v1, v8, -v2
	v_add_f32_e32 v2, 0x2d5127f5, v2
	v_fma_f32 v8, v1, v2, -v8
	v_add_f32_e32 v8, 0x3007ce66, v8
	v_fma_f32 v2, v1, v8, -v2
	v_add_f32_e32 v2, 0x31696325, v2
	v_fma_f32 v8, v1, v2, -v8
	v_add_f32_e32 v8, 0x32c2b494, v8
	v_fma_f32 v2, v1, v8, -v2
	v_add_f32_e32 v2, 0x345c003f, v2
	v_fma_f32 v8, v1, v2, -v8
	v_add_f32_e32 v8, 0x3642095e, v8
	v_fma_f32 v2, v1, v8, -v2
	v_add_f32_e32 v2, 0x38907d1c, v2
	v_fma_f32 v8, v1, v2, -v8
	v_add_f32_e32 v8, 0x3b5ccc65, v8
	v_fma_f32 v1, v1, v8, -v2
	v_add_u32_e32 v8, 1, v13
	v_add_f32_e32 v1, 0x3f4df315, v1
	v_cmp_ge_f32_e64 s[4:5], 0, v15
	v_fma_f32 v9, -v8, v13, v6
	v_sub_f32_e32 v1, v1, v2
	v_cndmask_b32_e64 v2, v13, v14, s[4:5]
	v_cmp_lt_f32_e64 s[4:5], 0, v9
	v_cndmask_b32_e64 v2, v2, v8, s[4:5]
	v_mul_f32_e32 v8, 0x37800000, v2
	v_cndmask_b32_e32 v2, v2, v8, vcc
	v_mov_b32_e32 v8, 0x260
	v_mul_f32_e32 v1, 0.5, v1
	v_cmp_class_f32_e32 vcc, v6, v8
	v_mul_f32_e32 v1, v10, v1
	v_cndmask_b32_e32 v2, v2, v6, vcc
	v_div_scale_f32 v6, s[4:5], v2, v2, v1
	v_div_scale_f32 v8, vcc, v1, v2, v1
	v_rcp_f32_e32 v9, v6
	v_fma_f32 v10, -v6, v9, 1.0
	v_fmac_f32_e32 v9, v10, v9
	v_mul_f32_e32 v10, v8, v9
	v_fma_f32 v11, -v6, v10, v8
	v_fmac_f32_e32 v10, v11, v9
	v_fma_f32 v6, -v6, v10, v8
	v_div_fmas_f32 v6, v6, v9, v10
	v_div_fixup_f32 v6, v6, v2, v1
.LBB14_19:
	s_or_b64 exec, exec, s[14:15]
	s_add_u32 s4, s8, s12
	s_addc_u32 s5, s9, s13
	global_store_dwordx2 v7, v[3:4], s[4:5]
	global_store_dwordx2 v7, v[5:6], s[4:5] offset:2048
	s_branch .LBB14_2
.LBB14_20:
	s_getpc_b64 s[4:5]
	s_add_u32 s4, s4, _ZN2at6native25elementwise_kernel_helperILb0EZZZNS0_12_GLOBAL__N_130modified_bessel_i0_kernel_cudaERNS_18TensorIteratorBaseEENKUlvE_clEvENKUlvE0_clEvEUlfE_NS0_6memory8policies11unroll_baseILi256ESt5arrayIPcLm2EE23TrivialOffsetCalculatorILi1EjESF_NS8_15LoadWithoutCastENS8_16StoreWithoutCastELi4ELi1EEEEEvT0_T1_@rel32@lo+4
	s_addc_u32 s5, s5, _ZN2at6native25elementwise_kernel_helperILb0EZZZNS0_12_GLOBAL__N_130modified_bessel_i0_kernel_cudaERNS_18TensorIteratorBaseEENKUlvE_clEvENKUlvE0_clEvEUlfE_NS0_6memory8policies11unroll_baseILi256ESt5arrayIPcLm2EE23TrivialOffsetCalculatorILi1EjESF_NS8_15LoadWithoutCastENS8_16StoreWithoutCastELi4ELi1EEEEEvT0_T1_@rel32@hi+12
	s_mov_b32 s12, s6
	v_mov_b32_e32 v31, v0
	v_mov_b32_e32 v0, s8
	;; [unrolled: 1-line block ×6, first 2 shown]
	s_swappc_b64 s[30:31], s[4:5]
	s_endpgm
	.section	.rodata,"a",@progbits
	.p2align	6, 0x0
	.amdhsa_kernel _ZN2at6native29vectorized_elementwise_kernelILi2EZZZNS0_12_GLOBAL__N_130modified_bessel_i0_kernel_cudaERNS_18TensorIteratorBaseEENKUlvE_clEvENKUlvE0_clEvEUlfE_St5arrayIPcLm2EEEEviT0_T1_
		.amdhsa_group_segment_fixed_size 0
		.amdhsa_private_segment_fixed_size 0
		.amdhsa_kernarg_size 24
		.amdhsa_user_sgpr_count 6
		.amdhsa_user_sgpr_private_segment_buffer 1
		.amdhsa_user_sgpr_dispatch_ptr 0
		.amdhsa_user_sgpr_queue_ptr 0
		.amdhsa_user_sgpr_kernarg_segment_ptr 1
		.amdhsa_user_sgpr_dispatch_id 0
		.amdhsa_user_sgpr_flat_scratch_init 0
		.amdhsa_user_sgpr_private_segment_size 0
		.amdhsa_uses_dynamic_stack 0
		.amdhsa_system_sgpr_private_segment_wavefront_offset 0
		.amdhsa_system_sgpr_workgroup_id_x 1
		.amdhsa_system_sgpr_workgroup_id_y 0
		.amdhsa_system_sgpr_workgroup_id_z 0
		.amdhsa_system_sgpr_workgroup_info 0
		.amdhsa_system_vgpr_workitem_id 0
		.amdhsa_next_free_vgpr 32
		.amdhsa_next_free_sgpr 33
		.amdhsa_reserve_vcc 1
		.amdhsa_reserve_flat_scratch 0
		.amdhsa_float_round_mode_32 0
		.amdhsa_float_round_mode_16_64 0
		.amdhsa_float_denorm_mode_32 3
		.amdhsa_float_denorm_mode_16_64 3
		.amdhsa_dx10_clamp 1
		.amdhsa_ieee_mode 1
		.amdhsa_fp16_overflow 0
		.amdhsa_exception_fp_ieee_invalid_op 0
		.amdhsa_exception_fp_denorm_src 0
		.amdhsa_exception_fp_ieee_div_zero 0
		.amdhsa_exception_fp_ieee_overflow 0
		.amdhsa_exception_fp_ieee_underflow 0
		.amdhsa_exception_fp_ieee_inexact 0
		.amdhsa_exception_int_div_zero 0
	.end_amdhsa_kernel
	.section	.text._ZN2at6native29vectorized_elementwise_kernelILi2EZZZNS0_12_GLOBAL__N_130modified_bessel_i0_kernel_cudaERNS_18TensorIteratorBaseEENKUlvE_clEvENKUlvE0_clEvEUlfE_St5arrayIPcLm2EEEEviT0_T1_,"axG",@progbits,_ZN2at6native29vectorized_elementwise_kernelILi2EZZZNS0_12_GLOBAL__N_130modified_bessel_i0_kernel_cudaERNS_18TensorIteratorBaseEENKUlvE_clEvENKUlvE0_clEvEUlfE_St5arrayIPcLm2EEEEviT0_T1_,comdat
.Lfunc_end14:
	.size	_ZN2at6native29vectorized_elementwise_kernelILi2EZZZNS0_12_GLOBAL__N_130modified_bessel_i0_kernel_cudaERNS_18TensorIteratorBaseEENKUlvE_clEvENKUlvE0_clEvEUlfE_St5arrayIPcLm2EEEEviT0_T1_, .Lfunc_end14-_ZN2at6native29vectorized_elementwise_kernelILi2EZZZNS0_12_GLOBAL__N_130modified_bessel_i0_kernel_cudaERNS_18TensorIteratorBaseEENKUlvE_clEvENKUlvE0_clEvEUlfE_St5arrayIPcLm2EEEEviT0_T1_
                                        ; -- End function
	.set _ZN2at6native29vectorized_elementwise_kernelILi2EZZZNS0_12_GLOBAL__N_130modified_bessel_i0_kernel_cudaERNS_18TensorIteratorBaseEENKUlvE_clEvENKUlvE0_clEvEUlfE_St5arrayIPcLm2EEEEviT0_T1_.num_vgpr, max(32, .L_ZN2at6native25elementwise_kernel_helperILb0EZZZNS0_12_GLOBAL__N_130modified_bessel_i0_kernel_cudaERNS_18TensorIteratorBaseEENKUlvE_clEvENKUlvE0_clEvEUlfE_NS0_6memory8policies11unroll_baseILi256ESt5arrayIPcLm2EE23TrivialOffsetCalculatorILi1EjESF_NS8_15LoadWithoutCastENS8_16StoreWithoutCastELi4ELi1EEEEEvT0_T1_.num_vgpr)
	.set _ZN2at6native29vectorized_elementwise_kernelILi2EZZZNS0_12_GLOBAL__N_130modified_bessel_i0_kernel_cudaERNS_18TensorIteratorBaseEENKUlvE_clEvENKUlvE0_clEvEUlfE_St5arrayIPcLm2EEEEviT0_T1_.num_agpr, max(0, .L_ZN2at6native25elementwise_kernel_helperILb0EZZZNS0_12_GLOBAL__N_130modified_bessel_i0_kernel_cudaERNS_18TensorIteratorBaseEENKUlvE_clEvENKUlvE0_clEvEUlfE_NS0_6memory8policies11unroll_baseILi256ESt5arrayIPcLm2EE23TrivialOffsetCalculatorILi1EjESF_NS8_15LoadWithoutCastENS8_16StoreWithoutCastELi4ELi1EEEEEvT0_T1_.num_agpr)
	.set _ZN2at6native29vectorized_elementwise_kernelILi2EZZZNS0_12_GLOBAL__N_130modified_bessel_i0_kernel_cudaERNS_18TensorIteratorBaseEENKUlvE_clEvENKUlvE0_clEvEUlfE_St5arrayIPcLm2EEEEviT0_T1_.numbered_sgpr, max(33, .L_ZN2at6native25elementwise_kernel_helperILb0EZZZNS0_12_GLOBAL__N_130modified_bessel_i0_kernel_cudaERNS_18TensorIteratorBaseEENKUlvE_clEvENKUlvE0_clEvEUlfE_NS0_6memory8policies11unroll_baseILi256ESt5arrayIPcLm2EE23TrivialOffsetCalculatorILi1EjESF_NS8_15LoadWithoutCastENS8_16StoreWithoutCastELi4ELi1EEEEEvT0_T1_.numbered_sgpr)
	.set _ZN2at6native29vectorized_elementwise_kernelILi2EZZZNS0_12_GLOBAL__N_130modified_bessel_i0_kernel_cudaERNS_18TensorIteratorBaseEENKUlvE_clEvENKUlvE0_clEvEUlfE_St5arrayIPcLm2EEEEviT0_T1_.num_named_barrier, max(0, .L_ZN2at6native25elementwise_kernel_helperILb0EZZZNS0_12_GLOBAL__N_130modified_bessel_i0_kernel_cudaERNS_18TensorIteratorBaseEENKUlvE_clEvENKUlvE0_clEvEUlfE_NS0_6memory8policies11unroll_baseILi256ESt5arrayIPcLm2EE23TrivialOffsetCalculatorILi1EjESF_NS8_15LoadWithoutCastENS8_16StoreWithoutCastELi4ELi1EEEEEvT0_T1_.num_named_barrier)
	.set _ZN2at6native29vectorized_elementwise_kernelILi2EZZZNS0_12_GLOBAL__N_130modified_bessel_i0_kernel_cudaERNS_18TensorIteratorBaseEENKUlvE_clEvENKUlvE0_clEvEUlfE_St5arrayIPcLm2EEEEviT0_T1_.private_seg_size, 0+max(.L_ZN2at6native25elementwise_kernel_helperILb0EZZZNS0_12_GLOBAL__N_130modified_bessel_i0_kernel_cudaERNS_18TensorIteratorBaseEENKUlvE_clEvENKUlvE0_clEvEUlfE_NS0_6memory8policies11unroll_baseILi256ESt5arrayIPcLm2EE23TrivialOffsetCalculatorILi1EjESF_NS8_15LoadWithoutCastENS8_16StoreWithoutCastELi4ELi1EEEEEvT0_T1_.private_seg_size)
	.set _ZN2at6native29vectorized_elementwise_kernelILi2EZZZNS0_12_GLOBAL__N_130modified_bessel_i0_kernel_cudaERNS_18TensorIteratorBaseEENKUlvE_clEvENKUlvE0_clEvEUlfE_St5arrayIPcLm2EEEEviT0_T1_.uses_vcc, or(1, .L_ZN2at6native25elementwise_kernel_helperILb0EZZZNS0_12_GLOBAL__N_130modified_bessel_i0_kernel_cudaERNS_18TensorIteratorBaseEENKUlvE_clEvENKUlvE0_clEvEUlfE_NS0_6memory8policies11unroll_baseILi256ESt5arrayIPcLm2EE23TrivialOffsetCalculatorILi1EjESF_NS8_15LoadWithoutCastENS8_16StoreWithoutCastELi4ELi1EEEEEvT0_T1_.uses_vcc)
	.set _ZN2at6native29vectorized_elementwise_kernelILi2EZZZNS0_12_GLOBAL__N_130modified_bessel_i0_kernel_cudaERNS_18TensorIteratorBaseEENKUlvE_clEvENKUlvE0_clEvEUlfE_St5arrayIPcLm2EEEEviT0_T1_.uses_flat_scratch, or(0, .L_ZN2at6native25elementwise_kernel_helperILb0EZZZNS0_12_GLOBAL__N_130modified_bessel_i0_kernel_cudaERNS_18TensorIteratorBaseEENKUlvE_clEvENKUlvE0_clEvEUlfE_NS0_6memory8policies11unroll_baseILi256ESt5arrayIPcLm2EE23TrivialOffsetCalculatorILi1EjESF_NS8_15LoadWithoutCastENS8_16StoreWithoutCastELi4ELi1EEEEEvT0_T1_.uses_flat_scratch)
	.set _ZN2at6native29vectorized_elementwise_kernelILi2EZZZNS0_12_GLOBAL__N_130modified_bessel_i0_kernel_cudaERNS_18TensorIteratorBaseEENKUlvE_clEvENKUlvE0_clEvEUlfE_St5arrayIPcLm2EEEEviT0_T1_.has_dyn_sized_stack, or(0, .L_ZN2at6native25elementwise_kernel_helperILb0EZZZNS0_12_GLOBAL__N_130modified_bessel_i0_kernel_cudaERNS_18TensorIteratorBaseEENKUlvE_clEvENKUlvE0_clEvEUlfE_NS0_6memory8policies11unroll_baseILi256ESt5arrayIPcLm2EE23TrivialOffsetCalculatorILi1EjESF_NS8_15LoadWithoutCastENS8_16StoreWithoutCastELi4ELi1EEEEEvT0_T1_.has_dyn_sized_stack)
	.set _ZN2at6native29vectorized_elementwise_kernelILi2EZZZNS0_12_GLOBAL__N_130modified_bessel_i0_kernel_cudaERNS_18TensorIteratorBaseEENKUlvE_clEvENKUlvE0_clEvEUlfE_St5arrayIPcLm2EEEEviT0_T1_.has_recursion, or(0, .L_ZN2at6native25elementwise_kernel_helperILb0EZZZNS0_12_GLOBAL__N_130modified_bessel_i0_kernel_cudaERNS_18TensorIteratorBaseEENKUlvE_clEvENKUlvE0_clEvEUlfE_NS0_6memory8policies11unroll_baseILi256ESt5arrayIPcLm2EE23TrivialOffsetCalculatorILi1EjESF_NS8_15LoadWithoutCastENS8_16StoreWithoutCastELi4ELi1EEEEEvT0_T1_.has_recursion)
	.set _ZN2at6native29vectorized_elementwise_kernelILi2EZZZNS0_12_GLOBAL__N_130modified_bessel_i0_kernel_cudaERNS_18TensorIteratorBaseEENKUlvE_clEvENKUlvE0_clEvEUlfE_St5arrayIPcLm2EEEEviT0_T1_.has_indirect_call, or(0, .L_ZN2at6native25elementwise_kernel_helperILb0EZZZNS0_12_GLOBAL__N_130modified_bessel_i0_kernel_cudaERNS_18TensorIteratorBaseEENKUlvE_clEvENKUlvE0_clEvEUlfE_NS0_6memory8policies11unroll_baseILi256ESt5arrayIPcLm2EE23TrivialOffsetCalculatorILi1EjESF_NS8_15LoadWithoutCastENS8_16StoreWithoutCastELi4ELi1EEEEEvT0_T1_.has_indirect_call)
	.section	.AMDGPU.csdata,"",@progbits
; Kernel info:
; codeLenInByte = 6032
; TotalNumSgprs: 37
; NumVgprs: 32
; ScratchSize: 0
; MemoryBound: 0
; FloatMode: 240
; IeeeMode: 1
; LDSByteSize: 0 bytes/workgroup (compile time only)
; SGPRBlocks: 4
; VGPRBlocks: 7
; NumSGPRsForWavesPerEU: 37
; NumVGPRsForWavesPerEU: 32
; Occupancy: 8
; WaveLimiterHint : 1
; COMPUTE_PGM_RSRC2:SCRATCH_EN: 0
; COMPUTE_PGM_RSRC2:USER_SGPR: 6
; COMPUTE_PGM_RSRC2:TRAP_HANDLER: 0
; COMPUTE_PGM_RSRC2:TGID_X_EN: 1
; COMPUTE_PGM_RSRC2:TGID_Y_EN: 0
; COMPUTE_PGM_RSRC2:TGID_Z_EN: 0
; COMPUTE_PGM_RSRC2:TIDIG_COMP_CNT: 0
	.section	.text._ZN2at6native27unrolled_elementwise_kernelIZZZNS0_12_GLOBAL__N_130modified_bessel_i0_kernel_cudaERNS_18TensorIteratorBaseEENKUlvE_clEvENKUlvE0_clEvEUlfE_St5arrayIPcLm2EELi4E23TrivialOffsetCalculatorILi1EjESC_NS0_6memory15LoadWithoutCastENSD_16StoreWithoutCastEEEviT_T0_T2_T3_T4_T5_,"axG",@progbits,_ZN2at6native27unrolled_elementwise_kernelIZZZNS0_12_GLOBAL__N_130modified_bessel_i0_kernel_cudaERNS_18TensorIteratorBaseEENKUlvE_clEvENKUlvE0_clEvEUlfE_St5arrayIPcLm2EELi4E23TrivialOffsetCalculatorILi1EjESC_NS0_6memory15LoadWithoutCastENSD_16StoreWithoutCastEEEviT_T0_T2_T3_T4_T5_,comdat
	.globl	_ZN2at6native27unrolled_elementwise_kernelIZZZNS0_12_GLOBAL__N_130modified_bessel_i0_kernel_cudaERNS_18TensorIteratorBaseEENKUlvE_clEvENKUlvE0_clEvEUlfE_St5arrayIPcLm2EELi4E23TrivialOffsetCalculatorILi1EjESC_NS0_6memory15LoadWithoutCastENSD_16StoreWithoutCastEEEviT_T0_T2_T3_T4_T5_ ; -- Begin function _ZN2at6native27unrolled_elementwise_kernelIZZZNS0_12_GLOBAL__N_130modified_bessel_i0_kernel_cudaERNS_18TensorIteratorBaseEENKUlvE_clEvENKUlvE0_clEvEUlfE_St5arrayIPcLm2EELi4E23TrivialOffsetCalculatorILi1EjESC_NS0_6memory15LoadWithoutCastENSD_16StoreWithoutCastEEEviT_T0_T2_T3_T4_T5_
	.p2align	8
	.type	_ZN2at6native27unrolled_elementwise_kernelIZZZNS0_12_GLOBAL__N_130modified_bessel_i0_kernel_cudaERNS_18TensorIteratorBaseEENKUlvE_clEvENKUlvE0_clEvEUlfE_St5arrayIPcLm2EELi4E23TrivialOffsetCalculatorILi1EjESC_NS0_6memory15LoadWithoutCastENSD_16StoreWithoutCastEEEviT_T0_T2_T3_T4_T5_,@function
_ZN2at6native27unrolled_elementwise_kernelIZZZNS0_12_GLOBAL__N_130modified_bessel_i0_kernel_cudaERNS_18TensorIteratorBaseEENKUlvE_clEvENKUlvE0_clEvEUlfE_St5arrayIPcLm2EELi4E23TrivialOffsetCalculatorILi1EjESC_NS0_6memory15LoadWithoutCastENSD_16StoreWithoutCastEEEviT_T0_T2_T3_T4_T5_: ; @_ZN2at6native27unrolled_elementwise_kernelIZZZNS0_12_GLOBAL__N_130modified_bessel_i0_kernel_cudaERNS_18TensorIteratorBaseEENKUlvE_clEvENKUlvE0_clEvEUlfE_St5arrayIPcLm2EELi4E23TrivialOffsetCalculatorILi1EjESC_NS0_6memory15LoadWithoutCastENSD_16StoreWithoutCastEEEviT_T0_T2_T3_T4_T5_
; %bb.0:
	s_add_u32 s0, s0, s7
	s_load_dword s7, s[4:5], 0x0
	s_load_dwordx4 s[8:11], s[4:5], 0x8
	s_addc_u32 s1, s1, 0
	s_lshl_b32 s4, s6, 10
	s_mov_b32 s12, s6
	s_waitcnt lgkmcnt(0)
	s_sub_i32 s7, s7, s4
	s_getpc_b64 s[4:5]
	s_add_u32 s4, s4, _ZN2at6native25elementwise_kernel_helperILb0EZZZNS0_12_GLOBAL__N_130modified_bessel_i0_kernel_cudaERNS_18TensorIteratorBaseEENKUlvE_clEvENKUlvE0_clEvEUlfE_NS0_6memory8policies11unroll_baseILi256ESt5arrayIPcLm2EE23TrivialOffsetCalculatorILi1EjESF_NS8_15LoadWithoutCastENS8_16StoreWithoutCastELi4ELi1EEEEEvT0_T1_@rel32@lo+4
	s_addc_u32 s5, s5, _ZN2at6native25elementwise_kernel_helperILb0EZZZNS0_12_GLOBAL__N_130modified_bessel_i0_kernel_cudaERNS_18TensorIteratorBaseEENKUlvE_clEvENKUlvE0_clEvEUlfE_NS0_6memory8policies11unroll_baseILi256ESt5arrayIPcLm2EE23TrivialOffsetCalculatorILi1EjESF_NS8_15LoadWithoutCastENS8_16StoreWithoutCastELi4ELi1EEEEEvT0_T1_@rel32@hi+12
	v_mov_b32_e32 v31, v0
	v_mov_b32_e32 v0, s8
	v_mov_b32_e32 v1, s9
	v_mov_b32_e32 v2, s10
	v_mov_b32_e32 v3, s11
	v_mov_b32_e32 v4, s7
	s_mov_b32 s32, 0
	s_swappc_b64 s[30:31], s[4:5]
	s_endpgm
	.section	.rodata,"a",@progbits
	.p2align	6, 0x0
	.amdhsa_kernel _ZN2at6native27unrolled_elementwise_kernelIZZZNS0_12_GLOBAL__N_130modified_bessel_i0_kernel_cudaERNS_18TensorIteratorBaseEENKUlvE_clEvENKUlvE0_clEvEUlfE_St5arrayIPcLm2EELi4E23TrivialOffsetCalculatorILi1EjESC_NS0_6memory15LoadWithoutCastENSD_16StoreWithoutCastEEEviT_T0_T2_T3_T4_T5_
		.amdhsa_group_segment_fixed_size 0
		.amdhsa_private_segment_fixed_size 0
		.amdhsa_kernarg_size 28
		.amdhsa_user_sgpr_count 6
		.amdhsa_user_sgpr_private_segment_buffer 1
		.amdhsa_user_sgpr_dispatch_ptr 0
		.amdhsa_user_sgpr_queue_ptr 0
		.amdhsa_user_sgpr_kernarg_segment_ptr 1
		.amdhsa_user_sgpr_dispatch_id 0
		.amdhsa_user_sgpr_flat_scratch_init 0
		.amdhsa_user_sgpr_private_segment_size 0
		.amdhsa_uses_dynamic_stack 0
		.amdhsa_system_sgpr_private_segment_wavefront_offset 0
		.amdhsa_system_sgpr_workgroup_id_x 1
		.amdhsa_system_sgpr_workgroup_id_y 0
		.amdhsa_system_sgpr_workgroup_id_z 0
		.amdhsa_system_sgpr_workgroup_info 0
		.amdhsa_system_vgpr_workitem_id 0
		.amdhsa_next_free_vgpr 32
		.amdhsa_next_free_sgpr 33
		.amdhsa_reserve_vcc 1
		.amdhsa_reserve_flat_scratch 0
		.amdhsa_float_round_mode_32 0
		.amdhsa_float_round_mode_16_64 0
		.amdhsa_float_denorm_mode_32 3
		.amdhsa_float_denorm_mode_16_64 3
		.amdhsa_dx10_clamp 1
		.amdhsa_ieee_mode 1
		.amdhsa_fp16_overflow 0
		.amdhsa_exception_fp_ieee_invalid_op 0
		.amdhsa_exception_fp_denorm_src 0
		.amdhsa_exception_fp_ieee_div_zero 0
		.amdhsa_exception_fp_ieee_overflow 0
		.amdhsa_exception_fp_ieee_underflow 0
		.amdhsa_exception_fp_ieee_inexact 0
		.amdhsa_exception_int_div_zero 0
	.end_amdhsa_kernel
	.section	.text._ZN2at6native27unrolled_elementwise_kernelIZZZNS0_12_GLOBAL__N_130modified_bessel_i0_kernel_cudaERNS_18TensorIteratorBaseEENKUlvE_clEvENKUlvE0_clEvEUlfE_St5arrayIPcLm2EELi4E23TrivialOffsetCalculatorILi1EjESC_NS0_6memory15LoadWithoutCastENSD_16StoreWithoutCastEEEviT_T0_T2_T3_T4_T5_,"axG",@progbits,_ZN2at6native27unrolled_elementwise_kernelIZZZNS0_12_GLOBAL__N_130modified_bessel_i0_kernel_cudaERNS_18TensorIteratorBaseEENKUlvE_clEvENKUlvE0_clEvEUlfE_St5arrayIPcLm2EELi4E23TrivialOffsetCalculatorILi1EjESC_NS0_6memory15LoadWithoutCastENSD_16StoreWithoutCastEEEviT_T0_T2_T3_T4_T5_,comdat
.Lfunc_end15:
	.size	_ZN2at6native27unrolled_elementwise_kernelIZZZNS0_12_GLOBAL__N_130modified_bessel_i0_kernel_cudaERNS_18TensorIteratorBaseEENKUlvE_clEvENKUlvE0_clEvEUlfE_St5arrayIPcLm2EELi4E23TrivialOffsetCalculatorILi1EjESC_NS0_6memory15LoadWithoutCastENSD_16StoreWithoutCastEEEviT_T0_T2_T3_T4_T5_, .Lfunc_end15-_ZN2at6native27unrolled_elementwise_kernelIZZZNS0_12_GLOBAL__N_130modified_bessel_i0_kernel_cudaERNS_18TensorIteratorBaseEENKUlvE_clEvENKUlvE0_clEvEUlfE_St5arrayIPcLm2EELi4E23TrivialOffsetCalculatorILi1EjESC_NS0_6memory15LoadWithoutCastENSD_16StoreWithoutCastEEEviT_T0_T2_T3_T4_T5_
                                        ; -- End function
	.set _ZN2at6native27unrolled_elementwise_kernelIZZZNS0_12_GLOBAL__N_130modified_bessel_i0_kernel_cudaERNS_18TensorIteratorBaseEENKUlvE_clEvENKUlvE0_clEvEUlfE_St5arrayIPcLm2EELi4E23TrivialOffsetCalculatorILi1EjESC_NS0_6memory15LoadWithoutCastENSD_16StoreWithoutCastEEEviT_T0_T2_T3_T4_T5_.num_vgpr, max(32, .L_ZN2at6native25elementwise_kernel_helperILb0EZZZNS0_12_GLOBAL__N_130modified_bessel_i0_kernel_cudaERNS_18TensorIteratorBaseEENKUlvE_clEvENKUlvE0_clEvEUlfE_NS0_6memory8policies11unroll_baseILi256ESt5arrayIPcLm2EE23TrivialOffsetCalculatorILi1EjESF_NS8_15LoadWithoutCastENS8_16StoreWithoutCastELi4ELi1EEEEEvT0_T1_.num_vgpr)
	.set _ZN2at6native27unrolled_elementwise_kernelIZZZNS0_12_GLOBAL__N_130modified_bessel_i0_kernel_cudaERNS_18TensorIteratorBaseEENKUlvE_clEvENKUlvE0_clEvEUlfE_St5arrayIPcLm2EELi4E23TrivialOffsetCalculatorILi1EjESC_NS0_6memory15LoadWithoutCastENSD_16StoreWithoutCastEEEviT_T0_T2_T3_T4_T5_.num_agpr, max(0, .L_ZN2at6native25elementwise_kernel_helperILb0EZZZNS0_12_GLOBAL__N_130modified_bessel_i0_kernel_cudaERNS_18TensorIteratorBaseEENKUlvE_clEvENKUlvE0_clEvEUlfE_NS0_6memory8policies11unroll_baseILi256ESt5arrayIPcLm2EE23TrivialOffsetCalculatorILi1EjESF_NS8_15LoadWithoutCastENS8_16StoreWithoutCastELi4ELi1EEEEEvT0_T1_.num_agpr)
	.set _ZN2at6native27unrolled_elementwise_kernelIZZZNS0_12_GLOBAL__N_130modified_bessel_i0_kernel_cudaERNS_18TensorIteratorBaseEENKUlvE_clEvENKUlvE0_clEvEUlfE_St5arrayIPcLm2EELi4E23TrivialOffsetCalculatorILi1EjESC_NS0_6memory15LoadWithoutCastENSD_16StoreWithoutCastEEEviT_T0_T2_T3_T4_T5_.numbered_sgpr, max(33, .L_ZN2at6native25elementwise_kernel_helperILb0EZZZNS0_12_GLOBAL__N_130modified_bessel_i0_kernel_cudaERNS_18TensorIteratorBaseEENKUlvE_clEvENKUlvE0_clEvEUlfE_NS0_6memory8policies11unroll_baseILi256ESt5arrayIPcLm2EE23TrivialOffsetCalculatorILi1EjESF_NS8_15LoadWithoutCastENS8_16StoreWithoutCastELi4ELi1EEEEEvT0_T1_.numbered_sgpr)
	.set _ZN2at6native27unrolled_elementwise_kernelIZZZNS0_12_GLOBAL__N_130modified_bessel_i0_kernel_cudaERNS_18TensorIteratorBaseEENKUlvE_clEvENKUlvE0_clEvEUlfE_St5arrayIPcLm2EELi4E23TrivialOffsetCalculatorILi1EjESC_NS0_6memory15LoadWithoutCastENSD_16StoreWithoutCastEEEviT_T0_T2_T3_T4_T5_.num_named_barrier, max(0, .L_ZN2at6native25elementwise_kernel_helperILb0EZZZNS0_12_GLOBAL__N_130modified_bessel_i0_kernel_cudaERNS_18TensorIteratorBaseEENKUlvE_clEvENKUlvE0_clEvEUlfE_NS0_6memory8policies11unroll_baseILi256ESt5arrayIPcLm2EE23TrivialOffsetCalculatorILi1EjESF_NS8_15LoadWithoutCastENS8_16StoreWithoutCastELi4ELi1EEEEEvT0_T1_.num_named_barrier)
	.set _ZN2at6native27unrolled_elementwise_kernelIZZZNS0_12_GLOBAL__N_130modified_bessel_i0_kernel_cudaERNS_18TensorIteratorBaseEENKUlvE_clEvENKUlvE0_clEvEUlfE_St5arrayIPcLm2EELi4E23TrivialOffsetCalculatorILi1EjESC_NS0_6memory15LoadWithoutCastENSD_16StoreWithoutCastEEEviT_T0_T2_T3_T4_T5_.private_seg_size, 0+max(.L_ZN2at6native25elementwise_kernel_helperILb0EZZZNS0_12_GLOBAL__N_130modified_bessel_i0_kernel_cudaERNS_18TensorIteratorBaseEENKUlvE_clEvENKUlvE0_clEvEUlfE_NS0_6memory8policies11unroll_baseILi256ESt5arrayIPcLm2EE23TrivialOffsetCalculatorILi1EjESF_NS8_15LoadWithoutCastENS8_16StoreWithoutCastELi4ELi1EEEEEvT0_T1_.private_seg_size)
	.set _ZN2at6native27unrolled_elementwise_kernelIZZZNS0_12_GLOBAL__N_130modified_bessel_i0_kernel_cudaERNS_18TensorIteratorBaseEENKUlvE_clEvENKUlvE0_clEvEUlfE_St5arrayIPcLm2EELi4E23TrivialOffsetCalculatorILi1EjESC_NS0_6memory15LoadWithoutCastENSD_16StoreWithoutCastEEEviT_T0_T2_T3_T4_T5_.uses_vcc, or(1, .L_ZN2at6native25elementwise_kernel_helperILb0EZZZNS0_12_GLOBAL__N_130modified_bessel_i0_kernel_cudaERNS_18TensorIteratorBaseEENKUlvE_clEvENKUlvE0_clEvEUlfE_NS0_6memory8policies11unroll_baseILi256ESt5arrayIPcLm2EE23TrivialOffsetCalculatorILi1EjESF_NS8_15LoadWithoutCastENS8_16StoreWithoutCastELi4ELi1EEEEEvT0_T1_.uses_vcc)
	.set _ZN2at6native27unrolled_elementwise_kernelIZZZNS0_12_GLOBAL__N_130modified_bessel_i0_kernel_cudaERNS_18TensorIteratorBaseEENKUlvE_clEvENKUlvE0_clEvEUlfE_St5arrayIPcLm2EELi4E23TrivialOffsetCalculatorILi1EjESC_NS0_6memory15LoadWithoutCastENSD_16StoreWithoutCastEEEviT_T0_T2_T3_T4_T5_.uses_flat_scratch, or(0, .L_ZN2at6native25elementwise_kernel_helperILb0EZZZNS0_12_GLOBAL__N_130modified_bessel_i0_kernel_cudaERNS_18TensorIteratorBaseEENKUlvE_clEvENKUlvE0_clEvEUlfE_NS0_6memory8policies11unroll_baseILi256ESt5arrayIPcLm2EE23TrivialOffsetCalculatorILi1EjESF_NS8_15LoadWithoutCastENS8_16StoreWithoutCastELi4ELi1EEEEEvT0_T1_.uses_flat_scratch)
	.set _ZN2at6native27unrolled_elementwise_kernelIZZZNS0_12_GLOBAL__N_130modified_bessel_i0_kernel_cudaERNS_18TensorIteratorBaseEENKUlvE_clEvENKUlvE0_clEvEUlfE_St5arrayIPcLm2EELi4E23TrivialOffsetCalculatorILi1EjESC_NS0_6memory15LoadWithoutCastENSD_16StoreWithoutCastEEEviT_T0_T2_T3_T4_T5_.has_dyn_sized_stack, or(0, .L_ZN2at6native25elementwise_kernel_helperILb0EZZZNS0_12_GLOBAL__N_130modified_bessel_i0_kernel_cudaERNS_18TensorIteratorBaseEENKUlvE_clEvENKUlvE0_clEvEUlfE_NS0_6memory8policies11unroll_baseILi256ESt5arrayIPcLm2EE23TrivialOffsetCalculatorILi1EjESF_NS8_15LoadWithoutCastENS8_16StoreWithoutCastELi4ELi1EEEEEvT0_T1_.has_dyn_sized_stack)
	.set _ZN2at6native27unrolled_elementwise_kernelIZZZNS0_12_GLOBAL__N_130modified_bessel_i0_kernel_cudaERNS_18TensorIteratorBaseEENKUlvE_clEvENKUlvE0_clEvEUlfE_St5arrayIPcLm2EELi4E23TrivialOffsetCalculatorILi1EjESC_NS0_6memory15LoadWithoutCastENSD_16StoreWithoutCastEEEviT_T0_T2_T3_T4_T5_.has_recursion, or(0, .L_ZN2at6native25elementwise_kernel_helperILb0EZZZNS0_12_GLOBAL__N_130modified_bessel_i0_kernel_cudaERNS_18TensorIteratorBaseEENKUlvE_clEvENKUlvE0_clEvEUlfE_NS0_6memory8policies11unroll_baseILi256ESt5arrayIPcLm2EE23TrivialOffsetCalculatorILi1EjESF_NS8_15LoadWithoutCastENS8_16StoreWithoutCastELi4ELi1EEEEEvT0_T1_.has_recursion)
	.set _ZN2at6native27unrolled_elementwise_kernelIZZZNS0_12_GLOBAL__N_130modified_bessel_i0_kernel_cudaERNS_18TensorIteratorBaseEENKUlvE_clEvENKUlvE0_clEvEUlfE_St5arrayIPcLm2EELi4E23TrivialOffsetCalculatorILi1EjESC_NS0_6memory15LoadWithoutCastENSD_16StoreWithoutCastEEEviT_T0_T2_T3_T4_T5_.has_indirect_call, or(0, .L_ZN2at6native25elementwise_kernel_helperILb0EZZZNS0_12_GLOBAL__N_130modified_bessel_i0_kernel_cudaERNS_18TensorIteratorBaseEENKUlvE_clEvENKUlvE0_clEvEUlfE_NS0_6memory8policies11unroll_baseILi256ESt5arrayIPcLm2EE23TrivialOffsetCalculatorILi1EjESF_NS8_15LoadWithoutCastENS8_16StoreWithoutCastELi4ELi1EEEEEvT0_T1_.has_indirect_call)
	.section	.AMDGPU.csdata,"",@progbits
; Kernel info:
; codeLenInByte = 96
; TotalNumSgprs: 37
; NumVgprs: 32
; ScratchSize: 0
; MemoryBound: 0
; FloatMode: 240
; IeeeMode: 1
; LDSByteSize: 0 bytes/workgroup (compile time only)
; SGPRBlocks: 4
; VGPRBlocks: 7
; NumSGPRsForWavesPerEU: 37
; NumVGPRsForWavesPerEU: 32
; Occupancy: 8
; WaveLimiterHint : 0
; COMPUTE_PGM_RSRC2:SCRATCH_EN: 0
; COMPUTE_PGM_RSRC2:USER_SGPR: 6
; COMPUTE_PGM_RSRC2:TRAP_HANDLER: 0
; COMPUTE_PGM_RSRC2:TGID_X_EN: 1
; COMPUTE_PGM_RSRC2:TGID_Y_EN: 0
; COMPUTE_PGM_RSRC2:TGID_Z_EN: 0
; COMPUTE_PGM_RSRC2:TIDIG_COMP_CNT: 0
	.section	.text._ZN2at6native32elementwise_kernel_manual_unrollILi128ELi4EZNS0_22gpu_kernel_impl_nocastIZZZNS0_12_GLOBAL__N_130modified_bessel_i0_kernel_cudaERNS_18TensorIteratorBaseEENKUlvE_clEvENKUlvE0_clEvEUlfE_EEvS5_RKT_EUlibE_EEviT1_,"axG",@progbits,_ZN2at6native32elementwise_kernel_manual_unrollILi128ELi4EZNS0_22gpu_kernel_impl_nocastIZZZNS0_12_GLOBAL__N_130modified_bessel_i0_kernel_cudaERNS_18TensorIteratorBaseEENKUlvE_clEvENKUlvE0_clEvEUlfE_EEvS5_RKT_EUlibE_EEviT1_,comdat
	.globl	_ZN2at6native32elementwise_kernel_manual_unrollILi128ELi4EZNS0_22gpu_kernel_impl_nocastIZZZNS0_12_GLOBAL__N_130modified_bessel_i0_kernel_cudaERNS_18TensorIteratorBaseEENKUlvE_clEvENKUlvE0_clEvEUlfE_EEvS5_RKT_EUlibE_EEviT1_ ; -- Begin function _ZN2at6native32elementwise_kernel_manual_unrollILi128ELi4EZNS0_22gpu_kernel_impl_nocastIZZZNS0_12_GLOBAL__N_130modified_bessel_i0_kernel_cudaERNS_18TensorIteratorBaseEENKUlvE_clEvENKUlvE0_clEvEUlfE_EEvS5_RKT_EUlibE_EEviT1_
	.p2align	8
	.type	_ZN2at6native32elementwise_kernel_manual_unrollILi128ELi4EZNS0_22gpu_kernel_impl_nocastIZZZNS0_12_GLOBAL__N_130modified_bessel_i0_kernel_cudaERNS_18TensorIteratorBaseEENKUlvE_clEvENKUlvE0_clEvEUlfE_EEvS5_RKT_EUlibE_EEviT1_,@function
_ZN2at6native32elementwise_kernel_manual_unrollILi128ELi4EZNS0_22gpu_kernel_impl_nocastIZZZNS0_12_GLOBAL__N_130modified_bessel_i0_kernel_cudaERNS_18TensorIteratorBaseEENKUlvE_clEvENKUlvE0_clEvEUlfE_EEvS5_RKT_EUlibE_EEviT1_: ; @_ZN2at6native32elementwise_kernel_manual_unrollILi128ELi4EZNS0_22gpu_kernel_impl_nocastIZZZNS0_12_GLOBAL__N_130modified_bessel_i0_kernel_cudaERNS_18TensorIteratorBaseEENKUlvE_clEvENKUlvE0_clEvEUlfE_EEvS5_RKT_EUlibE_EEviT1_
; %bb.0:
	s_load_dword s55, s[4:5], 0x0
	s_load_dword s33, s[4:5], 0x8
	s_add_u32 s34, s4, 8
	s_addc_u32 s35, s5, 0
	v_lshl_or_b32 v4, s6, 9, v0
	v_or_b32_e32 v13, 0x180, v4
	s_waitcnt lgkmcnt(0)
	s_add_i32 s54, s33, -1
	s_cmp_gt_u32 s54, 1
	v_cmp_le_i32_e32 vcc, s55, v13
	s_cselect_b64 s[36:37], -1, 0
	s_and_saveexec_b64 s[0:1], vcc
	s_xor_b64 s[38:39], exec, s[0:1]
	s_cbranch_execz .LBB16_7
; %bb.1:
	s_load_dwordx4 s[24:27], s[34:35], 0x4
	s_load_dwordx2 s[40:41], s[34:35], 0x14
	s_load_dwordx4 s[20:23], s[34:35], 0xc4
	s_load_dwordx4 s[16:19], s[34:35], 0x148
	s_cmp_lg_u32 s33, 0
	s_cselect_b64 s[46:47], -1, 0
	s_add_u32 s44, s34, 0xc4
	s_addc_u32 s45, s35, 0
	s_min_u32 s56, s54, 15
	s_cmp_gt_u32 s33, 1
	s_cselect_b64 s[42:43], -1, 0
	v_cmp_gt_i32_e32 vcc, s55, v4
	s_and_saveexec_b64 s[48:49], vcc
	s_cbranch_execz .LBB16_14
; %bb.2:
	s_andn2_b64 vcc, exec, s[36:37]
	s_cbranch_vccnz .LBB16_21
; %bb.3:
	s_andn2_b64 vcc, exec, s[46:47]
	s_cbranch_vccnz .LBB16_89
; %bb.4:
	s_add_i32 s58, s56, 1
	s_cmp_eq_u32 s54, 2
	s_cbranch_scc1 .LBB16_91
; %bb.5:
	s_and_b32 s57, s58, 28
	v_mov_b32_e32 v2, 0
	s_mov_b32 s59, 0
	s_mov_b64 s[50:51], s[34:35]
	s_mov_b64 s[52:53], s[44:45]
	v_mov_b32_e32 v0, 0
	v_mov_b32_e32 v1, v4
.LBB16_6:                               ; =>This Inner Loop Header: Depth=1
	s_load_dwordx8 s[8:15], s[50:51], 0x4
	s_load_dwordx4 s[28:31], s[50:51], 0x24
	s_load_dwordx8 s[0:7], s[52:53], 0x0
	s_add_u32 s50, s50, 48
	s_addc_u32 s51, s51, 0
	s_waitcnt lgkmcnt(0)
	v_mul_hi_u32 v3, s9, v1
	s_add_i32 s59, s59, 4
	s_add_u32 s52, s52, 32
	s_addc_u32 s53, s53, 0
	v_add_u32_e32 v3, v1, v3
	v_lshrrev_b32_e32 v3, s10, v3
	v_mul_lo_u32 v5, v3, s8
	v_mul_hi_u32 v6, s12, v3
	s_cmp_lg_u32 s57, s59
	v_sub_u32_e32 v1, v1, v5
	v_add_u32_e32 v5, v3, v6
	v_mul_lo_u32 v6, v1, s0
	v_mul_lo_u32 v7, v1, s1
	v_lshrrev_b32_e32 v1, s13, v5
	v_mul_lo_u32 v5, v1, s11
	v_mul_hi_u32 v8, s15, v1
	v_sub_u32_e32 v3, v3, v5
	v_add_u32_e32 v5, v1, v8
	v_lshrrev_b32_e32 v5, s28, v5
	v_mul_hi_u32 v9, s30, v5
	v_mul_lo_u32 v10, v5, s14
	v_mul_lo_u32 v8, v3, s2
	;; [unrolled: 1-line block ×3, first 2 shown]
	v_sub_u32_e32 v10, v1, v10
	v_add_u32_e32 v1, v5, v9
	v_lshrrev_b32_e32 v1, s31, v1
	v_mul_lo_u32 v9, v1, s29
	v_mul_lo_u32 v11, v10, s4
	v_mul_lo_u32 v10, v10, s5
	v_add3_u32 v0, v6, v0, v8
	v_sub_u32_e32 v5, v5, v9
	v_mul_lo_u32 v9, v5, s6
	v_mul_lo_u32 v5, v5, s7
	v_add3_u32 v2, v7, v2, v3
	v_add3_u32 v0, v11, v0, v9
	;; [unrolled: 1-line block ×3, first 2 shown]
	s_cbranch_scc1 .LBB16_6
	s_branch .LBB16_92
.LBB16_7:
	s_andn2_saveexec_b64 s[0:1], s[38:39]
	s_cbranch_execz .LBB16_125
.LBB16_8:
	v_cndmask_b32_e64 v0, 0, 1, s[36:37]
	v_cmp_ne_u32_e64 s[0:1], 1, v0
	s_andn2_b64 vcc, exec, s[36:37]
	s_cbranch_vccnz .LBB16_20
; %bb.9:
	s_cmp_lg_u32 s33, 0
	s_waitcnt lgkmcnt(0)
	s_mov_b32 s26, 0
	s_cbranch_scc0 .LBB16_23
; %bb.10:
	s_min_u32 s27, s54, 15
	s_add_i32 s27, s27, 1
	s_cmp_eq_u32 s54, 2
	s_cbranch_scc1 .LBB16_24
; %bb.11:
	s_and_b32 s26, s27, 28
	s_add_u32 s2, s34, 0xc4
	s_addc_u32 s3, s35, 0
	v_mov_b32_e32 v11, 0
	s_mov_b32 s28, 0
	s_mov_b64 s[24:25], s[34:35]
	v_mov_b32_e32 v0, 0
	v_mov_b32_e32 v1, v4
.LBB16_12:                              ; =>This Inner Loop Header: Depth=1
	s_load_dwordx8 s[12:19], s[24:25], 0x4
	s_load_dwordx4 s[20:23], s[24:25], 0x24
	s_load_dwordx8 s[4:11], s[2:3], 0x0
	s_add_u32 s24, s24, 48
	s_addc_u32 s25, s25, 0
	s_waitcnt lgkmcnt(0)
	v_mul_hi_u32 v2, s13, v1
	s_add_i32 s28, s28, 4
	s_add_u32 s2, s2, 32
	s_addc_u32 s3, s3, 0
	v_add_u32_e32 v2, v1, v2
	v_lshrrev_b32_e32 v2, s14, v2
	v_mul_lo_u32 v3, v2, s12
	v_mul_hi_u32 v5, s16, v2
	s_cmp_lg_u32 s26, s28
	v_sub_u32_e32 v1, v1, v3
	v_add_u32_e32 v3, v2, v5
	v_mul_lo_u32 v5, v1, s4
	v_mul_lo_u32 v6, v1, s5
	v_lshrrev_b32_e32 v1, s17, v3
	v_mul_lo_u32 v3, v1, s15
	v_mul_hi_u32 v7, s19, v1
	v_sub_u32_e32 v2, v2, v3
	v_add_u32_e32 v3, v1, v7
	v_lshrrev_b32_e32 v3, s20, v3
	v_mul_hi_u32 v8, s22, v3
	v_mul_lo_u32 v9, v3, s18
	v_mul_lo_u32 v7, v2, s6
	v_mul_lo_u32 v2, v2, s7
	v_sub_u32_e32 v9, v1, v9
	v_add_u32_e32 v1, v3, v8
	v_lshrrev_b32_e32 v1, s23, v1
	v_mul_lo_u32 v8, v1, s21
	v_mul_lo_u32 v10, v9, s8
	;; [unrolled: 1-line block ×3, first 2 shown]
	v_add3_u32 v0, v5, v0, v7
	v_sub_u32_e32 v3, v3, v8
	v_mul_lo_u32 v8, v3, s10
	v_mul_lo_u32 v3, v3, s11
	v_add3_u32 v2, v6, v11, v2
	v_add3_u32 v0, v10, v0, v8
	;; [unrolled: 1-line block ×3, first 2 shown]
	s_cbranch_scc1 .LBB16_12
; %bb.13:
	s_and_b32 s6, s27, 3
	s_cmp_eq_u32 s6, 0
	s_cbranch_scc0 .LBB16_25
	s_branch .LBB16_27
.LBB16_14:
	s_or_b64 exec, exec, s[48:49]
	v_cmp_gt_i32_e32 vcc, s55, v4
	s_and_saveexec_b64 s[48:49], vcc
	s_cbranch_execz .LBB16_103
.LBB16_15:
	s_andn2_b64 vcc, exec, s[36:37]
	s_cbranch_vccnz .LBB16_22
; %bb.16:
	s_andn2_b64 vcc, exec, s[46:47]
	s_cbranch_vccnz .LBB16_90
; %bb.17:
	s_add_i32 s58, s56, 1
	s_cmp_eq_u32 s54, 2
	s_cbranch_scc1 .LBB16_111
; %bb.18:
	s_and_b32 s57, s58, 28
	v_mov_b32_e32 v2, 0
	s_mov_b32 s59, 0
	s_mov_b64 s[50:51], s[34:35]
	s_mov_b64 s[52:53], s[44:45]
	v_mov_b32_e32 v0, 0
	v_mov_b32_e32 v1, v4
.LBB16_19:                              ; =>This Inner Loop Header: Depth=1
	s_load_dwordx8 s[8:15], s[50:51], 0x4
	s_load_dwordx4 s[28:31], s[50:51], 0x24
	s_load_dwordx8 s[0:7], s[52:53], 0x0
	s_add_u32 s50, s50, 48
	s_addc_u32 s51, s51, 0
	s_waitcnt lgkmcnt(0)
	v_mul_hi_u32 v3, s9, v1
	s_add_i32 s59, s59, 4
	s_add_u32 s52, s52, 32
	s_addc_u32 s53, s53, 0
	v_add_u32_e32 v3, v1, v3
	v_lshrrev_b32_e32 v3, s10, v3
	v_mul_lo_u32 v5, v3, s8
	v_mul_hi_u32 v6, s12, v3
	s_cmp_eq_u32 s57, s59
	v_sub_u32_e32 v1, v1, v5
	v_add_u32_e32 v5, v3, v6
	v_mul_lo_u32 v6, v1, s0
	v_mul_lo_u32 v7, v1, s1
	v_lshrrev_b32_e32 v1, s13, v5
	v_mul_lo_u32 v5, v1, s11
	v_mul_hi_u32 v8, s15, v1
	v_sub_u32_e32 v3, v3, v5
	v_add_u32_e32 v5, v1, v8
	v_lshrrev_b32_e32 v5, s28, v5
	v_mul_hi_u32 v9, s30, v5
	v_mul_lo_u32 v10, v5, s14
	v_mul_lo_u32 v8, v3, s2
	;; [unrolled: 1-line block ×3, first 2 shown]
	v_sub_u32_e32 v10, v1, v10
	v_add_u32_e32 v1, v5, v9
	v_lshrrev_b32_e32 v1, s31, v1
	v_mul_lo_u32 v9, v1, s29
	v_mul_lo_u32 v11, v10, s4
	v_mul_lo_u32 v10, v10, s5
	v_add3_u32 v0, v6, v0, v8
	v_sub_u32_e32 v5, v5, v9
	v_mul_lo_u32 v9, v5, s6
	v_mul_lo_u32 v5, v5, s7
	v_add3_u32 v2, v7, v2, v3
	v_add3_u32 v0, v11, v0, v9
	;; [unrolled: 1-line block ×3, first 2 shown]
	s_cbranch_scc0 .LBB16_19
	s_branch .LBB16_112
.LBB16_20:
                                        ; implicit-def: $vgpr0
                                        ; implicit-def: $vgpr11
	s_branch .LBB16_28
.LBB16_21:
                                        ; implicit-def: $vgpr0
                                        ; implicit-def: $vgpr2
	s_branch .LBB16_96
.LBB16_22:
                                        ; implicit-def: $vgpr0
                                        ; implicit-def: $vgpr2
	s_branch .LBB16_116
.LBB16_23:
	v_mov_b32_e32 v0, 0
	v_mov_b32_e32 v11, 0
	s_branch .LBB16_27
.LBB16_24:
	v_mov_b32_e32 v0, 0
	v_mov_b32_e32 v11, 0
	;; [unrolled: 1-line block ×3, first 2 shown]
	s_and_b32 s6, s27, 3
	s_cmp_eq_u32 s6, 0
	s_cbranch_scc1 .LBB16_27
.LBB16_25:
	s_lshl_b32 s2, s26, 3
	s_add_u32 s2, s34, s2
	s_addc_u32 s3, s35, 0
	s_add_u32 s2, s2, 0xc4
	s_addc_u32 s3, s3, 0
	s_mul_i32 s4, s26, 12
	s_add_u32 s4, s34, s4
	s_addc_u32 s5, s35, 0
.LBB16_26:                              ; =>This Inner Loop Header: Depth=1
	s_load_dwordx2 s[8:9], s[4:5], 0x4
	s_load_dword s7, s[4:5], 0xc
	s_load_dwordx2 s[10:11], s[2:3], 0x0
	s_add_u32 s4, s4, 12
	s_addc_u32 s5, s5, 0
	s_waitcnt lgkmcnt(0)
	v_mul_hi_u32 v2, s9, v1
	s_add_u32 s2, s2, 8
	s_addc_u32 s3, s3, 0
	s_add_i32 s6, s6, -1
	v_add_u32_e32 v2, v1, v2
	v_lshrrev_b32_e32 v2, s7, v2
	v_mul_lo_u32 v3, v2, s8
	s_cmp_lg_u32 s6, 0
	v_sub_u32_e32 v3, v1, v3
	v_mad_u64_u32 v[0:1], s[8:9], v3, s10, v[0:1]
	v_mad_u64_u32 v[11:12], s[8:9], v3, s11, v[11:12]
	v_mov_b32_e32 v1, v2
	s_cbranch_scc1 .LBB16_26
.LBB16_27:
	s_cbranch_execnz .LBB16_30
.LBB16_28:
	s_load_dwordx4 s[4:7], s[34:35], 0x4
	s_load_dwordx2 s[2:3], s[34:35], 0xc4
	s_cmp_lt_u32 s33, 2
	s_waitcnt lgkmcnt(0)
	v_mul_hi_u32 v0, s5, v4
	v_add_u32_e32 v0, v4, v0
	v_lshrrev_b32_e32 v1, s6, v0
	v_mul_lo_u32 v0, v1, s4
	v_sub_u32_e32 v2, v4, v0
	v_mul_lo_u32 v0, v2, s2
	v_mul_lo_u32 v11, v2, s3
	s_cbranch_scc1 .LBB16_30
; %bb.29:
	s_load_dwordx4 s[4:7], s[34:35], 0x10
	s_load_dwordx2 s[2:3], s[34:35], 0xcc
	s_waitcnt lgkmcnt(0)
	v_mul_hi_u32 v2, s5, v1
	v_add_u32_e32 v2, v1, v2
	v_lshrrev_b32_e32 v2, s6, v2
	v_mul_lo_u32 v2, v2, s4
	v_sub_u32_e32 v2, v1, v2
	v_mad_u64_u32 v[0:1], s[4:5], v2, s2, v[0:1]
	v_mad_u64_u32 v[11:12], s[2:3], v2, s3, v[11:12]
.LBB16_30:
	s_and_b64 vcc, exec, s[0:1]
	v_add_u32_e32 v3, 0x80, v4
	s_cbranch_vccnz .LBB16_36
; %bb.31:
	s_cmp_lg_u32 s33, 0
	s_waitcnt lgkmcnt(0)
	s_mov_b32 s26, 0
	s_cbranch_scc0 .LBB16_37
; %bb.32:
	s_min_u32 s27, s54, 15
	s_add_i32 s27, s27, 1
	s_cmp_eq_u32 s54, 2
	s_cbranch_scc1 .LBB16_38
; %bb.33:
	s_and_b32 s26, s27, 28
	s_add_u32 s2, s34, 0xc4
	s_addc_u32 s3, s35, 0
	v_mov_b32_e32 v9, 0
	s_mov_b32 s28, 0
	s_mov_b64 s[24:25], s[34:35]
	v_mov_b32_e32 v1, 0
	v_mov_b32_e32 v2, v3
.LBB16_34:                              ; =>This Inner Loop Header: Depth=1
	s_load_dwordx8 s[12:19], s[24:25], 0x4
	s_load_dwordx4 s[20:23], s[24:25], 0x24
	s_load_dwordx8 s[4:11], s[2:3], 0x0
	s_add_u32 s24, s24, 48
	s_addc_u32 s25, s25, 0
	s_waitcnt lgkmcnt(0)
	v_mul_hi_u32 v5, s13, v2
	s_add_i32 s28, s28, 4
	s_add_u32 s2, s2, 32
	s_addc_u32 s3, s3, 0
	v_add_u32_e32 v5, v2, v5
	v_lshrrev_b32_e32 v5, s14, v5
	v_mul_lo_u32 v6, v5, s12
	v_mul_hi_u32 v7, s16, v5
	s_cmp_lg_u32 s26, s28
	v_sub_u32_e32 v2, v2, v6
	v_add_u32_e32 v6, v5, v7
	v_mul_lo_u32 v7, v2, s4
	v_mul_lo_u32 v8, v2, s5
	v_lshrrev_b32_e32 v2, s17, v6
	v_mul_lo_u32 v6, v2, s15
	v_mul_hi_u32 v10, s19, v2
	v_sub_u32_e32 v5, v5, v6
	v_add_u32_e32 v6, v2, v10
	v_lshrrev_b32_e32 v6, s20, v6
	v_mul_hi_u32 v12, s22, v6
	v_mul_lo_u32 v14, v6, s18
	v_mul_lo_u32 v10, v5, s6
	;; [unrolled: 1-line block ×3, first 2 shown]
	v_sub_u32_e32 v14, v2, v14
	v_add_u32_e32 v2, v6, v12
	v_lshrrev_b32_e32 v2, s23, v2
	v_mul_lo_u32 v12, v2, s21
	v_mul_lo_u32 v15, v14, s8
	;; [unrolled: 1-line block ×3, first 2 shown]
	v_add3_u32 v1, v7, v1, v10
	v_sub_u32_e32 v6, v6, v12
	v_mul_lo_u32 v12, v6, s10
	v_mul_lo_u32 v6, v6, s11
	v_add3_u32 v5, v8, v9, v5
	v_add3_u32 v1, v15, v1, v12
	;; [unrolled: 1-line block ×3, first 2 shown]
	s_cbranch_scc1 .LBB16_34
; %bb.35:
	s_and_b32 s6, s27, 3
	s_cmp_eq_u32 s6, 0
	s_cbranch_scc0 .LBB16_39
	s_branch .LBB16_41
.LBB16_36:
                                        ; implicit-def: $vgpr1
                                        ; implicit-def: $vgpr9
	s_branch .LBB16_42
.LBB16_37:
	v_mov_b32_e32 v1, 0
	v_mov_b32_e32 v9, 0
	s_branch .LBB16_41
.LBB16_38:
	v_mov_b32_e32 v1, 0
	v_mov_b32_e32 v9, 0
	;; [unrolled: 1-line block ×3, first 2 shown]
	s_and_b32 s6, s27, 3
	s_cmp_eq_u32 s6, 0
	s_cbranch_scc1 .LBB16_41
.LBB16_39:
	s_lshl_b32 s2, s26, 3
	s_add_u32 s2, s34, s2
	s_addc_u32 s3, s35, 0
	s_add_u32 s2, s2, 0xc4
	s_addc_u32 s3, s3, 0
	s_mul_i32 s4, s26, 12
	s_add_u32 s4, s34, s4
	s_addc_u32 s5, s35, 0
.LBB16_40:                              ; =>This Inner Loop Header: Depth=1
	s_load_dwordx2 s[8:9], s[4:5], 0x4
	s_load_dword s7, s[4:5], 0xc
	s_load_dwordx2 s[10:11], s[2:3], 0x0
	s_add_u32 s4, s4, 12
	s_addc_u32 s5, s5, 0
	s_waitcnt lgkmcnt(0)
	v_mul_hi_u32 v5, s9, v2
	s_add_u32 s2, s2, 8
	s_addc_u32 s3, s3, 0
	s_add_i32 s6, s6, -1
	v_add_u32_e32 v5, v2, v5
	v_lshrrev_b32_e32 v5, s7, v5
	v_mul_lo_u32 v6, v5, s8
	s_cmp_lg_u32 s6, 0
	v_sub_u32_e32 v6, v2, v6
	v_mad_u64_u32 v[1:2], s[8:9], v6, s10, v[1:2]
	v_mad_u64_u32 v[9:10], s[8:9], v6, s11, v[9:10]
	v_mov_b32_e32 v2, v5
	s_cbranch_scc1 .LBB16_40
.LBB16_41:
	s_cbranch_execnz .LBB16_44
.LBB16_42:
	s_load_dwordx4 s[4:7], s[34:35], 0x4
	s_load_dwordx2 s[2:3], s[34:35], 0xc4
	s_cmp_lt_u32 s33, 2
	s_waitcnt lgkmcnt(0)
	v_mul_hi_u32 v1, s5, v3
	v_add_u32_e32 v1, v3, v1
	v_lshrrev_b32_e32 v2, s6, v1
	v_mul_lo_u32 v1, v2, s4
	v_sub_u32_e32 v3, v3, v1
	v_mul_lo_u32 v1, v3, s2
	v_mul_lo_u32 v9, v3, s3
	s_cbranch_scc1 .LBB16_44
; %bb.43:
	s_load_dwordx4 s[4:7], s[34:35], 0x10
	s_load_dwordx2 s[2:3], s[34:35], 0xcc
	s_waitcnt lgkmcnt(0)
	v_mul_hi_u32 v3, s5, v2
	v_add_u32_e32 v3, v2, v3
	v_lshrrev_b32_e32 v3, s6, v3
	v_mul_lo_u32 v3, v3, s4
	v_sub_u32_e32 v3, v2, v3
	v_mad_u64_u32 v[1:2], s[4:5], v3, s2, v[1:2]
	v_mad_u64_u32 v[9:10], s[2:3], v3, s3, v[9:10]
.LBB16_44:
	s_and_b64 vcc, exec, s[0:1]
	v_add_u32_e32 v4, 0x100, v4
	s_cbranch_vccnz .LBB16_50
; %bb.45:
	s_cmp_lg_u32 s33, 0
	s_waitcnt lgkmcnt(0)
	s_mov_b32 s26, 0
	s_cbranch_scc0 .LBB16_51
; %bb.46:
	s_min_u32 s27, s54, 15
	s_add_i32 s27, s27, 1
	s_cmp_eq_u32 s54, 2
	s_cbranch_scc1 .LBB16_52
; %bb.47:
	s_and_b32 s26, s27, 28
	s_add_u32 s2, s34, 0xc4
	s_addc_u32 s3, s35, 0
	v_mov_b32_e32 v7, 0
	s_mov_b32 s28, 0
	s_mov_b64 s[24:25], s[34:35]
	v_mov_b32_e32 v2, 0
	v_mov_b32_e32 v3, v4
.LBB16_48:                              ; =>This Inner Loop Header: Depth=1
	s_load_dwordx8 s[12:19], s[24:25], 0x4
	s_load_dwordx4 s[20:23], s[24:25], 0x24
	s_load_dwordx8 s[4:11], s[2:3], 0x0
	s_add_u32 s24, s24, 48
	s_addc_u32 s25, s25, 0
	s_waitcnt lgkmcnt(0)
	v_mul_hi_u32 v5, s13, v3
	s_add_i32 s28, s28, 4
	s_add_u32 s2, s2, 32
	s_addc_u32 s3, s3, 0
	v_add_u32_e32 v5, v3, v5
	v_lshrrev_b32_e32 v5, s14, v5
	v_mul_lo_u32 v6, v5, s12
	v_mul_hi_u32 v8, s16, v5
	s_cmp_lg_u32 s26, s28
	v_sub_u32_e32 v3, v3, v6
	v_add_u32_e32 v6, v5, v8
	v_mul_lo_u32 v8, v3, s4
	v_mul_lo_u32 v10, v3, s5
	v_lshrrev_b32_e32 v3, s17, v6
	v_mul_lo_u32 v6, v3, s15
	v_mul_hi_u32 v12, s19, v3
	v_sub_u32_e32 v5, v5, v6
	v_add_u32_e32 v6, v3, v12
	v_lshrrev_b32_e32 v6, s20, v6
	v_mul_hi_u32 v14, s22, v6
	v_mul_lo_u32 v15, v6, s18
	v_mul_lo_u32 v12, v5, s6
	;; [unrolled: 1-line block ×3, first 2 shown]
	v_sub_u32_e32 v15, v3, v15
	v_add_u32_e32 v3, v6, v14
	v_lshrrev_b32_e32 v3, s23, v3
	v_mul_lo_u32 v14, v3, s21
	v_mul_lo_u32 v16, v15, s8
	;; [unrolled: 1-line block ×3, first 2 shown]
	v_add3_u32 v2, v8, v2, v12
	v_sub_u32_e32 v6, v6, v14
	v_mul_lo_u32 v14, v6, s10
	v_mul_lo_u32 v6, v6, s11
	v_add3_u32 v5, v10, v7, v5
	v_add3_u32 v2, v16, v2, v14
	;; [unrolled: 1-line block ×3, first 2 shown]
	s_cbranch_scc1 .LBB16_48
; %bb.49:
	s_and_b32 s6, s27, 3
	s_cmp_eq_u32 s6, 0
	s_cbranch_scc0 .LBB16_53
	s_branch .LBB16_55
.LBB16_50:
                                        ; implicit-def: $vgpr2
                                        ; implicit-def: $vgpr7
	s_branch .LBB16_56
.LBB16_51:
	v_mov_b32_e32 v2, 0
	v_mov_b32_e32 v7, 0
	s_branch .LBB16_55
.LBB16_52:
	v_mov_b32_e32 v2, 0
	v_mov_b32_e32 v7, 0
	;; [unrolled: 1-line block ×3, first 2 shown]
	s_and_b32 s6, s27, 3
	s_cmp_eq_u32 s6, 0
	s_cbranch_scc1 .LBB16_55
.LBB16_53:
	s_lshl_b32 s2, s26, 3
	s_add_u32 s2, s34, s2
	s_addc_u32 s3, s35, 0
	s_add_u32 s2, s2, 0xc4
	s_addc_u32 s3, s3, 0
	s_mul_i32 s4, s26, 12
	s_add_u32 s4, s34, s4
	s_addc_u32 s5, s35, 0
.LBB16_54:                              ; =>This Inner Loop Header: Depth=1
	s_load_dwordx2 s[8:9], s[4:5], 0x4
	s_load_dword s7, s[4:5], 0xc
	s_load_dwordx2 s[10:11], s[2:3], 0x0
	s_add_u32 s4, s4, 12
	s_addc_u32 s5, s5, 0
	s_waitcnt lgkmcnt(0)
	v_mul_hi_u32 v5, s9, v3
	s_add_u32 s2, s2, 8
	s_addc_u32 s3, s3, 0
	s_add_i32 s6, s6, -1
	v_add_u32_e32 v5, v3, v5
	v_lshrrev_b32_e32 v5, s7, v5
	v_mul_lo_u32 v6, v5, s8
	s_cmp_lg_u32 s6, 0
	v_sub_u32_e32 v6, v3, v6
	v_mad_u64_u32 v[2:3], s[8:9], v6, s10, v[2:3]
	v_mad_u64_u32 v[7:8], s[8:9], v6, s11, v[7:8]
	v_mov_b32_e32 v3, v5
	s_cbranch_scc1 .LBB16_54
.LBB16_55:
	s_cbranch_execnz .LBB16_58
.LBB16_56:
	s_load_dwordx4 s[4:7], s[34:35], 0x4
	s_load_dwordx2 s[2:3], s[34:35], 0xc4
	s_cmp_lt_u32 s33, 2
	s_waitcnt lgkmcnt(0)
	v_mul_hi_u32 v2, s5, v4
	v_add_u32_e32 v2, v4, v2
	v_lshrrev_b32_e32 v3, s6, v2
	v_mul_lo_u32 v2, v3, s4
	v_sub_u32_e32 v4, v4, v2
	v_mul_lo_u32 v2, v4, s2
	v_mul_lo_u32 v7, v4, s3
	s_cbranch_scc1 .LBB16_58
; %bb.57:
	s_load_dwordx4 s[4:7], s[34:35], 0x10
	s_load_dwordx2 s[2:3], s[34:35], 0xcc
	s_waitcnt lgkmcnt(0)
	v_mul_hi_u32 v4, s5, v3
	v_add_u32_e32 v4, v3, v4
	v_lshrrev_b32_e32 v4, s6, v4
	v_mul_lo_u32 v4, v4, s4
	v_sub_u32_e32 v4, v3, v4
	v_mad_u64_u32 v[2:3], s[4:5], v4, s2, v[2:3]
	v_mad_u64_u32 v[7:8], s[2:3], v4, s3, v[7:8]
.LBB16_58:
	s_and_b64 vcc, exec, s[0:1]
	s_cbranch_vccnz .LBB16_64
; %bb.59:
	s_cmp_lg_u32 s33, 0
	s_waitcnt lgkmcnt(0)
	s_mov_b32 s24, 0
	s_cbranch_scc0 .LBB16_65
; %bb.60:
	s_min_u32 s25, s54, 15
	s_add_i32 s25, s25, 1
	s_cmp_eq_u32 s54, 2
	s_cbranch_scc1 .LBB16_66
; %bb.61:
	s_and_b32 s24, s25, 28
	s_add_u32 s20, s34, 0xc4
	s_addc_u32 s21, s35, 0
	v_mov_b32_e32 v5, 0
	s_mov_b32 s26, 0
	s_mov_b64 s[22:23], s[34:35]
	v_mov_b32_e32 v3, 0
	v_mov_b32_e32 v4, v13
.LBB16_62:                              ; =>This Inner Loop Header: Depth=1
	s_load_dwordx8 s[8:15], s[22:23], 0x4
	s_load_dwordx4 s[16:19], s[22:23], 0x24
	s_load_dwordx8 s[0:7], s[20:21], 0x0
	s_add_u32 s22, s22, 48
	s_addc_u32 s23, s23, 0
	s_waitcnt lgkmcnt(0)
	v_mul_hi_u32 v6, s9, v4
	s_add_i32 s26, s26, 4
	s_add_u32 s20, s20, 32
	s_addc_u32 s21, s21, 0
	v_add_u32_e32 v6, v4, v6
	v_lshrrev_b32_e32 v6, s10, v6
	v_mul_lo_u32 v8, v6, s8
	v_mul_hi_u32 v10, s12, v6
	s_cmp_lg_u32 s24, s26
	v_sub_u32_e32 v4, v4, v8
	v_add_u32_e32 v8, v6, v10
	v_mul_lo_u32 v10, v4, s0
	v_mul_lo_u32 v12, v4, s1
	v_lshrrev_b32_e32 v4, s13, v8
	v_mul_lo_u32 v8, v4, s11
	v_mul_hi_u32 v14, s15, v4
	v_sub_u32_e32 v6, v6, v8
	v_add_u32_e32 v8, v4, v14
	v_lshrrev_b32_e32 v8, s16, v8
	v_mul_hi_u32 v15, s18, v8
	v_mul_lo_u32 v16, v8, s14
	v_mul_lo_u32 v14, v6, s2
	;; [unrolled: 1-line block ×3, first 2 shown]
	v_sub_u32_e32 v16, v4, v16
	v_add_u32_e32 v4, v8, v15
	v_lshrrev_b32_e32 v4, s19, v4
	v_mul_lo_u32 v15, v4, s17
	v_mul_lo_u32 v17, v16, s4
	;; [unrolled: 1-line block ×3, first 2 shown]
	v_add3_u32 v3, v10, v3, v14
	v_sub_u32_e32 v8, v8, v15
	v_mul_lo_u32 v15, v8, s6
	v_mul_lo_u32 v8, v8, s7
	v_add3_u32 v5, v12, v5, v6
	v_add3_u32 v3, v17, v3, v15
	;; [unrolled: 1-line block ×3, first 2 shown]
	s_cbranch_scc1 .LBB16_62
; %bb.63:
	s_and_b32 s4, s25, 3
	s_cmp_eq_u32 s4, 0
	s_cbranch_scc0 .LBB16_67
	s_branch .LBB16_69
.LBB16_64:
                                        ; implicit-def: $vgpr3
                                        ; implicit-def: $vgpr5
	s_branch .LBB16_70
.LBB16_65:
	v_mov_b32_e32 v3, 0
	v_mov_b32_e32 v5, 0
	s_branch .LBB16_69
.LBB16_66:
	v_mov_b32_e32 v3, 0
	v_mov_b32_e32 v5, 0
	;; [unrolled: 1-line block ×3, first 2 shown]
	s_and_b32 s4, s25, 3
	s_cmp_eq_u32 s4, 0
	s_cbranch_scc1 .LBB16_69
.LBB16_67:
	s_lshl_b32 s0, s24, 3
	s_add_u32 s0, s34, s0
	s_addc_u32 s1, s35, 0
	s_add_u32 s0, s0, 0xc4
	s_addc_u32 s1, s1, 0
	s_mul_i32 s2, s24, 12
	s_add_u32 s2, s34, s2
	s_addc_u32 s3, s35, 0
.LBB16_68:                              ; =>This Inner Loop Header: Depth=1
	s_load_dwordx2 s[6:7], s[2:3], 0x4
	s_load_dword s5, s[2:3], 0xc
	s_load_dwordx2 s[8:9], s[0:1], 0x0
	s_add_u32 s2, s2, 12
	s_addc_u32 s3, s3, 0
	s_waitcnt lgkmcnt(0)
	v_mul_hi_u32 v6, s7, v4
	s_add_u32 s0, s0, 8
	s_addc_u32 s1, s1, 0
	s_add_i32 s4, s4, -1
	v_add_u32_e32 v6, v4, v6
	v_lshrrev_b32_e32 v8, s5, v6
	v_mul_lo_u32 v6, v8, s6
	s_cmp_lg_u32 s4, 0
	v_sub_u32_e32 v6, v4, v6
	v_mad_u64_u32 v[3:4], s[6:7], v6, s8, v[3:4]
	v_mad_u64_u32 v[5:6], s[6:7], v6, s9, v[5:6]
	v_mov_b32_e32 v4, v8
	s_cbranch_scc1 .LBB16_68
.LBB16_69:
	s_cbranch_execnz .LBB16_72
.LBB16_70:
	s_load_dwordx4 s[0:3], s[34:35], 0x4
	s_load_dwordx2 s[4:5], s[34:35], 0xc4
	s_cmp_lt_u32 s33, 2
	s_waitcnt lgkmcnt(0)
	v_mul_hi_u32 v3, s1, v13
	v_add_u32_e32 v3, v13, v3
	v_lshrrev_b32_e32 v4, s2, v3
	v_mul_lo_u32 v3, v4, s0
	v_sub_u32_e32 v5, v13, v3
	v_mul_lo_u32 v3, v5, s4
	v_mul_lo_u32 v5, v5, s5
	s_cbranch_scc1 .LBB16_72
; %bb.71:
	s_load_dwordx4 s[0:3], s[34:35], 0x10
	s_load_dwordx2 s[4:5], s[34:35], 0xcc
	s_waitcnt lgkmcnt(0)
	v_mul_hi_u32 v6, s1, v4
	v_add_u32_e32 v6, v4, v6
	v_lshrrev_b32_e32 v6, s2, v6
	v_mul_lo_u32 v6, v6, s0
	v_sub_u32_e32 v6, v4, v6
	v_mad_u64_u32 v[3:4], s[0:1], v6, s4, v[3:4]
	v_mad_u64_u32 v[5:6], s[0:1], v6, s5, v[5:6]
.LBB16_72:
	s_load_dwordx4 s[4:7], s[34:35], 0x148
	s_mov_b32 s0, 0x41000000
                                        ; implicit-def: $vgpr4
	s_waitcnt lgkmcnt(0)
	global_load_dword v6, v11, s[6:7]
	s_waitcnt vmcnt(0)
	v_cmp_le_f32_e64 s[0:1], |v6|, s0
	s_and_saveexec_b64 s[2:3], s[0:1]
	s_xor_b64 s[0:1], exec, s[2:3]
	s_cbranch_execz .LBB16_74
; %bb.73:
	v_fma_f32 v4, |v6|, 0.5, -2.0
	v_mov_b32_e32 v8, 0x24199b15
	v_fmac_f32_e32 v8, 0xa2a2e5b9, v4
	v_mov_b32_e32 v10, 0x22a2e5b9
	v_fmac_f32_e32 v10, v4, v8
	v_add_f32_e32 v10, 0xa58c275c, v10
	v_fma_f32 v8, v4, v10, -v8
	v_add_f32_e32 v8, 0x26f736c5, v8
	v_fma_f32 v10, v4, v8, -v10
	;; [unrolled: 2-line block ×22, first 2 shown]
	v_add_f32_e32 v10, 0xbcc274f8, v10
	s_mov_b32 s2, 0x3fb8aa3b
	v_fma_f32 v8, v4, v10, -v8
	v_mul_f32_e64 v11, |v6|, s2
	v_add_f32_e32 v8, 0x3d49f456, v8
	v_rndne_f32_e32 v12, v11
	v_fma_f32 v10, v4, v8, -v10
	v_sub_f32_e32 v13, v11, v12
	v_fma_f32 v11, |v6|, s2, -v11
	s_mov_b32 s2, 0x32a5705f
	v_add_f32_e32 v10, 0xbdc25b82, v10
	v_fma_f32 v11, |v6|, s2, v11
	v_fma_f32 v8, v4, v10, -v8
	v_add_f32_e32 v11, v13, v11
	v_add_f32_e32 v8, 0x3e2fbd64, v8
	v_exp_f32_e32 v11, v11
	v_cvt_i32_f32_e32 v12, v12
	v_fma_f32 v10, v4, v8, -v10
	v_add_f32_e32 v10, 0xbe9bff5e, v10
	v_fma_f32 v4, v4, v10, -v8
	s_mov_b32 s2, 0xc2ce8ed0
	v_add_f32_e32 v4, 0x3f2d4275, v4
	v_ldexp_f32 v10, v11, v12
	v_cmp_nlt_f32_e64 vcc, |v6|, s2
	s_mov_b32 s2, 0x42b17218
	v_cndmask_b32_e32 v10, 0, v10, vcc
	v_mov_b32_e32 v11, 0x7f800000
	v_cmp_ngt_f32_e64 vcc, |v6|, s2
	v_sub_f32_e32 v4, v4, v8
	v_cndmask_b32_e32 v6, v11, v10, vcc
	v_mul_f32_e32 v4, 0.5, v4
	v_mul_f32_e32 v4, v6, v4
                                        ; implicit-def: $vgpr6
.LBB16_74:
	s_andn2_saveexec_b64 s[2:3], s[0:1]
	s_cbranch_execz .LBB16_76
; %bb.75:
	v_and_b32_e32 v4, 0x7fffffff, v6
	s_mov_b32 s8, 0x42000000
	v_div_scale_f32 v8, s[0:1], v4, v4, s8
	v_div_scale_f32 v4, vcc, s8, v4, s8
	s_mov_b32 s0, 0x3fb8aa3b
	v_mul_f32_e64 v12, |v6|, s0
	s_mov_b32 s1, 0x32a5705f
	v_rndne_f32_e32 v15, v12
	v_fma_f32 v16, |v6|, s0, -v12
	s_mov_b32 s11, 0xf800000
	s_mov_b32 s12, 0x4f800000
	v_sub_f32_e32 v12, v12, v15
	v_mul_f32_e64 v14, |v6|, s12
	v_mov_b32_e32 v10, 0xa2b236d3
	v_mov_b32_e32 v11, 0x23056dbb
	s_mov_b32 s9, 0xc2ce8ed0
	v_rcp_f32_e32 v13, v8
	s_mov_b32 s10, 0x42b17218
	v_fma_f32 v17, -v8, v13, 1.0
	v_fmac_f32_e32 v13, v17, v13
	v_mul_f32_e32 v17, v4, v13
	v_fma_f32 v18, -v8, v17, v4
	v_fmac_f32_e32 v17, v18, v13
	v_fma_f32 v4, -v8, v17, v4
	v_div_fmas_f32 v4, v4, v13, v17
	v_fma_f32 v13, |v6|, s1, v16
	v_cmp_lt_f32_e64 vcc, |v6|, s11
	v_add_f32_e32 v12, v12, v13
	v_cndmask_b32_e64 v8, |v6|, v14, vcc
	v_cvt_i32_f32_e32 v14, v15
	v_exp_f32_e32 v12, v12
	v_cmp_nlt_f32_e64 s[0:1], |v6|, s9
	v_sqrt_f32_e32 v15, v8
	v_mov_b32_e32 v13, 0x7f800000
	v_ldexp_f32 v12, v12, v14
	v_cndmask_b32_e64 v12, 0, v12, s[0:1]
	v_cmp_ngt_f32_e64 s[0:1], |v6|, s10
	v_add_u32_e32 v16, -1, v15
	v_fma_f32 v17, -v16, v15, v8
	v_cndmask_b32_e64 v12, v13, v12, s[0:1]
	v_div_fixup_f32 v4, v4, |v6|, s8
	v_add_f32_e32 v4, -2.0, v4
	v_fmac_f32_e32 v10, 0xa3056dbb, v4
	v_fmac_f32_e32 v11, v4, v10
	v_add_f32_e32 v6, 0x244df0c1, v11
	v_fma_f32 v10, v4, v6, -v10
	v_add_f32_e32 v10, 0x241f9ee8, v10
	v_fma_f32 v6, v4, v10, -v6
	;; [unrolled: 2-line block ×22, first 2 shown]
	v_add_u32_e32 v10, 1, v15
	v_add_f32_e32 v4, 0x3f4df315, v4
	v_cmp_ge_f32_e64 s[0:1], 0, v17
	v_fma_f32 v11, -v10, v15, v8
	v_sub_f32_e32 v4, v4, v6
	v_cndmask_b32_e64 v6, v15, v16, s[0:1]
	v_cmp_lt_f32_e64 s[0:1], 0, v11
	v_cndmask_b32_e64 v6, v6, v10, s[0:1]
	v_mul_f32_e32 v10, 0x37800000, v6
	v_cndmask_b32_e32 v6, v6, v10, vcc
	v_mov_b32_e32 v10, 0x260
	v_mul_f32_e32 v4, 0.5, v4
	v_cmp_class_f32_e32 vcc, v8, v10
	v_mul_f32_e32 v4, v12, v4
	v_cndmask_b32_e32 v6, v6, v8, vcc
	v_div_scale_f32 v8, s[0:1], v6, v6, v4
	v_div_scale_f32 v10, vcc, v4, v6, v4
	v_rcp_f32_e32 v11, v8
	v_fma_f32 v12, -v8, v11, 1.0
	v_fmac_f32_e32 v11, v12, v11
	v_mul_f32_e32 v12, v10, v11
	v_fma_f32 v13, -v8, v12, v10
	v_fmac_f32_e32 v12, v13, v11
	v_fma_f32 v8, -v8, v12, v10
	v_div_fmas_f32 v8, v8, v11, v12
	v_div_fixup_f32 v4, v8, v6, v4
.LBB16_76:
	s_or_b64 exec, exec, s[2:3]
	global_load_dword v8, v9, s[6:7]
	s_mov_b32 s0, 0x41000000
                                        ; implicit-def: $vgpr6
	s_waitcnt vmcnt(0)
	v_cmp_le_f32_e64 s[0:1], |v8|, s0
	s_and_saveexec_b64 s[2:3], s[0:1]
	s_xor_b64 s[0:1], exec, s[2:3]
	s_cbranch_execz .LBB16_78
; %bb.77:
	v_fma_f32 v6, |v8|, 0.5, -2.0
	v_mov_b32_e32 v9, 0x24199b15
	v_fmac_f32_e32 v9, 0xa2a2e5b9, v6
	v_mov_b32_e32 v10, 0x22a2e5b9
	v_fmac_f32_e32 v10, v6, v9
	v_add_f32_e32 v10, 0xa58c275c, v10
	v_fma_f32 v9, v6, v10, -v9
	v_add_f32_e32 v9, 0x26f736c5, v9
	v_fma_f32 v10, v6, v9, -v10
	;; [unrolled: 2-line block ×22, first 2 shown]
	v_add_f32_e32 v10, 0xbcc274f8, v10
	s_mov_b32 s2, 0x3fb8aa3b
	v_fma_f32 v9, v6, v10, -v9
	v_mul_f32_e64 v11, |v8|, s2
	v_add_f32_e32 v9, 0x3d49f456, v9
	v_rndne_f32_e32 v12, v11
	v_fma_f32 v10, v6, v9, -v10
	v_sub_f32_e32 v13, v11, v12
	v_fma_f32 v11, |v8|, s2, -v11
	s_mov_b32 s2, 0x32a5705f
	v_add_f32_e32 v10, 0xbdc25b82, v10
	v_fma_f32 v11, |v8|, s2, v11
	v_fma_f32 v9, v6, v10, -v9
	v_add_f32_e32 v11, v13, v11
	v_add_f32_e32 v9, 0x3e2fbd64, v9
	v_exp_f32_e32 v11, v11
	v_cvt_i32_f32_e32 v12, v12
	v_fma_f32 v10, v6, v9, -v10
	v_add_f32_e32 v10, 0xbe9bff5e, v10
	v_fma_f32 v6, v6, v10, -v9
	s_mov_b32 s2, 0xc2ce8ed0
	v_add_f32_e32 v6, 0x3f2d4275, v6
	v_ldexp_f32 v10, v11, v12
	v_cmp_nlt_f32_e64 vcc, |v8|, s2
	s_mov_b32 s2, 0x42b17218
	v_cndmask_b32_e32 v10, 0, v10, vcc
	v_mov_b32_e32 v11, 0x7f800000
	v_cmp_ngt_f32_e64 vcc, |v8|, s2
	v_sub_f32_e32 v6, v6, v9
	v_cndmask_b32_e32 v8, v11, v10, vcc
	v_mul_f32_e32 v6, 0.5, v6
	v_mul_f32_e32 v6, v8, v6
                                        ; implicit-def: $vgpr8
.LBB16_78:
	s_andn2_saveexec_b64 s[2:3], s[0:1]
	s_cbranch_execz .LBB16_80
; %bb.79:
	v_and_b32_e32 v6, 0x7fffffff, v8
	s_mov_b32 s8, 0x42000000
	v_div_scale_f32 v9, s[0:1], v6, v6, s8
	v_div_scale_f32 v6, vcc, s8, v6, s8
	s_mov_b32 s0, 0x3fb8aa3b
	v_mul_f32_e64 v12, |v8|, s0
	s_mov_b32 s1, 0x32a5705f
	v_rndne_f32_e32 v15, v12
	v_fma_f32 v16, |v8|, s0, -v12
	s_mov_b32 s11, 0xf800000
	s_mov_b32 s12, 0x4f800000
	v_sub_f32_e32 v12, v12, v15
	v_mul_f32_e64 v14, |v8|, s12
	v_mov_b32_e32 v10, 0xa2b236d3
	v_mov_b32_e32 v11, 0x23056dbb
	s_mov_b32 s9, 0xc2ce8ed0
	v_rcp_f32_e32 v13, v9
	s_mov_b32 s10, 0x42b17218
	v_fma_f32 v17, -v9, v13, 1.0
	v_fmac_f32_e32 v13, v17, v13
	v_mul_f32_e32 v17, v6, v13
	v_fma_f32 v18, -v9, v17, v6
	v_fmac_f32_e32 v17, v18, v13
	v_fma_f32 v6, -v9, v17, v6
	v_div_fmas_f32 v6, v6, v13, v17
	v_fma_f32 v13, |v8|, s1, v16
	v_cmp_lt_f32_e64 vcc, |v8|, s11
	v_add_f32_e32 v12, v12, v13
	v_cndmask_b32_e64 v9, |v8|, v14, vcc
	v_cvt_i32_f32_e32 v14, v15
	v_exp_f32_e32 v12, v12
	v_cmp_nlt_f32_e64 s[0:1], |v8|, s9
	v_sqrt_f32_e32 v15, v9
	v_mov_b32_e32 v13, 0x7f800000
	v_ldexp_f32 v12, v12, v14
	v_cndmask_b32_e64 v12, 0, v12, s[0:1]
	v_cmp_ngt_f32_e64 s[0:1], |v8|, s10
	v_add_u32_e32 v16, -1, v15
	v_fma_f32 v17, -v16, v15, v9
	v_cndmask_b32_e64 v12, v13, v12, s[0:1]
	v_div_fixup_f32 v6, v6, |v8|, s8
	v_add_f32_e32 v6, -2.0, v6
	v_fmac_f32_e32 v10, 0xa3056dbb, v6
	v_fmac_f32_e32 v11, v6, v10
	v_add_f32_e32 v8, 0x244df0c1, v11
	v_fma_f32 v10, v6, v8, -v10
	v_add_f32_e32 v10, 0x241f9ee8, v10
	v_fma_f32 v8, v6, v10, -v8
	;; [unrolled: 2-line block ×22, first 2 shown]
	v_add_u32_e32 v10, 1, v15
	v_add_f32_e32 v6, 0x3f4df315, v6
	v_cmp_ge_f32_e64 s[0:1], 0, v17
	v_fma_f32 v11, -v10, v15, v9
	v_sub_f32_e32 v6, v6, v8
	v_cndmask_b32_e64 v8, v15, v16, s[0:1]
	v_cmp_lt_f32_e64 s[0:1], 0, v11
	v_cndmask_b32_e64 v8, v8, v10, s[0:1]
	v_mul_f32_e32 v10, 0x37800000, v8
	v_cndmask_b32_e32 v8, v8, v10, vcc
	v_mov_b32_e32 v10, 0x260
	v_mul_f32_e32 v6, 0.5, v6
	v_cmp_class_f32_e32 vcc, v9, v10
	v_mul_f32_e32 v6, v12, v6
	v_cndmask_b32_e32 v8, v8, v9, vcc
	v_div_scale_f32 v9, s[0:1], v8, v8, v6
	v_div_scale_f32 v10, vcc, v6, v8, v6
	v_rcp_f32_e32 v11, v9
	v_fma_f32 v12, -v9, v11, 1.0
	v_fmac_f32_e32 v11, v12, v11
	v_mul_f32_e32 v12, v10, v11
	v_fma_f32 v13, -v9, v12, v10
	v_fmac_f32_e32 v12, v13, v11
	v_fma_f32 v9, -v9, v12, v10
	v_div_fmas_f32 v9, v9, v11, v12
	v_div_fixup_f32 v6, v9, v8, v6
.LBB16_80:
	s_or_b64 exec, exec, s[2:3]
	global_load_dword v8, v7, s[6:7]
	s_mov_b32 s0, 0x41000000
                                        ; implicit-def: $vgpr7
	s_waitcnt vmcnt(0)
	v_cmp_le_f32_e64 s[0:1], |v8|, s0
	s_and_saveexec_b64 s[2:3], s[0:1]
	s_xor_b64 s[0:1], exec, s[2:3]
	s_cbranch_execz .LBB16_82
; %bb.81:
	v_fma_f32 v7, |v8|, 0.5, -2.0
	v_mov_b32_e32 v9, 0x24199b15
	v_fmac_f32_e32 v9, 0xa2a2e5b9, v7
	v_mov_b32_e32 v10, 0x22a2e5b9
	v_fmac_f32_e32 v10, v7, v9
	v_add_f32_e32 v10, 0xa58c275c, v10
	v_fma_f32 v9, v7, v10, -v9
	v_add_f32_e32 v9, 0x26f736c5, v9
	v_fma_f32 v10, v7, v9, -v10
	;; [unrolled: 2-line block ×22, first 2 shown]
	v_add_f32_e32 v10, 0xbcc274f8, v10
	s_mov_b32 s2, 0x3fb8aa3b
	v_fma_f32 v9, v7, v10, -v9
	v_mul_f32_e64 v11, |v8|, s2
	v_add_f32_e32 v9, 0x3d49f456, v9
	v_rndne_f32_e32 v12, v11
	v_fma_f32 v10, v7, v9, -v10
	v_sub_f32_e32 v13, v11, v12
	v_fma_f32 v11, |v8|, s2, -v11
	s_mov_b32 s2, 0x32a5705f
	v_add_f32_e32 v10, 0xbdc25b82, v10
	v_fma_f32 v11, |v8|, s2, v11
	v_fma_f32 v9, v7, v10, -v9
	v_add_f32_e32 v11, v13, v11
	v_add_f32_e32 v9, 0x3e2fbd64, v9
	v_exp_f32_e32 v11, v11
	v_cvt_i32_f32_e32 v12, v12
	v_fma_f32 v10, v7, v9, -v10
	v_add_f32_e32 v10, 0xbe9bff5e, v10
	v_fma_f32 v7, v7, v10, -v9
	s_mov_b32 s2, 0xc2ce8ed0
	v_add_f32_e32 v7, 0x3f2d4275, v7
	v_ldexp_f32 v10, v11, v12
	v_cmp_nlt_f32_e64 vcc, |v8|, s2
	s_mov_b32 s2, 0x42b17218
	v_cndmask_b32_e32 v10, 0, v10, vcc
	v_mov_b32_e32 v11, 0x7f800000
	v_cmp_ngt_f32_e64 vcc, |v8|, s2
	v_sub_f32_e32 v7, v7, v9
	v_cndmask_b32_e32 v8, v11, v10, vcc
	v_mul_f32_e32 v7, 0.5, v7
	v_mul_f32_e32 v7, v8, v7
                                        ; implicit-def: $vgpr8
.LBB16_82:
	s_andn2_saveexec_b64 s[2:3], s[0:1]
	s_cbranch_execz .LBB16_84
; %bb.83:
	v_and_b32_e32 v7, 0x7fffffff, v8
	s_mov_b32 s8, 0x42000000
	v_div_scale_f32 v9, s[0:1], v7, v7, s8
	v_div_scale_f32 v7, vcc, s8, v7, s8
	s_mov_b32 s0, 0x3fb8aa3b
	v_mul_f32_e64 v12, |v8|, s0
	s_mov_b32 s1, 0x32a5705f
	v_rndne_f32_e32 v15, v12
	v_fma_f32 v16, |v8|, s0, -v12
	s_mov_b32 s11, 0xf800000
	s_mov_b32 s12, 0x4f800000
	v_sub_f32_e32 v12, v12, v15
	v_mul_f32_e64 v14, |v8|, s12
	v_mov_b32_e32 v10, 0xa2b236d3
	v_mov_b32_e32 v11, 0x23056dbb
	s_mov_b32 s9, 0xc2ce8ed0
	v_rcp_f32_e32 v13, v9
	s_mov_b32 s10, 0x42b17218
	v_fma_f32 v17, -v9, v13, 1.0
	v_fmac_f32_e32 v13, v17, v13
	v_mul_f32_e32 v17, v7, v13
	v_fma_f32 v18, -v9, v17, v7
	v_fmac_f32_e32 v17, v18, v13
	v_fma_f32 v7, -v9, v17, v7
	v_div_fmas_f32 v7, v7, v13, v17
	v_fma_f32 v13, |v8|, s1, v16
	v_cmp_lt_f32_e64 vcc, |v8|, s11
	v_add_f32_e32 v12, v12, v13
	v_cndmask_b32_e64 v9, |v8|, v14, vcc
	v_cvt_i32_f32_e32 v14, v15
	v_exp_f32_e32 v12, v12
	v_cmp_nlt_f32_e64 s[0:1], |v8|, s9
	v_sqrt_f32_e32 v15, v9
	v_mov_b32_e32 v13, 0x7f800000
	v_ldexp_f32 v12, v12, v14
	v_cndmask_b32_e64 v12, 0, v12, s[0:1]
	v_cmp_ngt_f32_e64 s[0:1], |v8|, s10
	v_add_u32_e32 v16, -1, v15
	v_fma_f32 v17, -v16, v15, v9
	v_cndmask_b32_e64 v12, v13, v12, s[0:1]
	v_div_fixup_f32 v7, v7, |v8|, s8
	v_add_f32_e32 v7, -2.0, v7
	v_fmac_f32_e32 v10, 0xa3056dbb, v7
	v_fmac_f32_e32 v11, v7, v10
	v_add_f32_e32 v8, 0x244df0c1, v11
	v_fma_f32 v10, v7, v8, -v10
	v_add_f32_e32 v10, 0x241f9ee8, v10
	v_fma_f32 v8, v7, v10, -v8
	;; [unrolled: 2-line block ×22, first 2 shown]
	v_add_u32_e32 v10, 1, v15
	v_add_f32_e32 v7, 0x3f4df315, v7
	v_cmp_ge_f32_e64 s[0:1], 0, v17
	v_fma_f32 v11, -v10, v15, v9
	v_sub_f32_e32 v7, v7, v8
	v_cndmask_b32_e64 v8, v15, v16, s[0:1]
	v_cmp_lt_f32_e64 s[0:1], 0, v11
	v_cndmask_b32_e64 v8, v8, v10, s[0:1]
	v_mul_f32_e32 v10, 0x37800000, v8
	v_cndmask_b32_e32 v8, v8, v10, vcc
	v_mov_b32_e32 v10, 0x260
	v_mul_f32_e32 v7, 0.5, v7
	v_cmp_class_f32_e32 vcc, v9, v10
	v_mul_f32_e32 v7, v12, v7
	v_cndmask_b32_e32 v8, v8, v9, vcc
	v_div_scale_f32 v9, s[0:1], v8, v8, v7
	v_div_scale_f32 v10, vcc, v7, v8, v7
	v_rcp_f32_e32 v11, v9
	v_fma_f32 v12, -v9, v11, 1.0
	v_fmac_f32_e32 v11, v12, v11
	v_mul_f32_e32 v12, v10, v11
	v_fma_f32 v13, -v9, v12, v10
	v_fmac_f32_e32 v12, v13, v11
	v_fma_f32 v9, -v9, v12, v10
	v_div_fmas_f32 v9, v9, v11, v12
	v_div_fixup_f32 v7, v9, v8, v7
.LBB16_84:
	s_or_b64 exec, exec, s[2:3]
	global_load_dword v5, v5, s[6:7]
	s_mov_b32 s0, 0x41000000
                                        ; implicit-def: $vgpr8
	s_waitcnt vmcnt(0)
	v_cmp_le_f32_e64 s[0:1], |v5|, s0
	s_and_saveexec_b64 s[2:3], s[0:1]
	s_xor_b64 s[0:1], exec, s[2:3]
	s_cbranch_execz .LBB16_86
; %bb.85:
	v_fma_f32 v8, |v5|, 0.5, -2.0
	v_mov_b32_e32 v9, 0x24199b15
	v_fmac_f32_e32 v9, 0xa2a2e5b9, v8
	v_mov_b32_e32 v10, 0x22a2e5b9
	v_fmac_f32_e32 v10, v8, v9
	v_add_f32_e32 v10, 0xa58c275c, v10
	v_fma_f32 v9, v8, v10, -v9
	v_add_f32_e32 v9, 0x26f736c5, v9
	v_fma_f32 v10, v8, v9, -v10
	v_add_f32_e32 v10, 0xa8528116, v10
	v_fma_f32 v9, v8, v10, -v9
	v_add_f32_e32 v9, 0x29acda32, v9
	v_fma_f32 v10, v8, v9, -v10
	v_add_f32_e32 v10, 0xab08b263, v10
	v_fma_f32 v9, v8, v10, -v9
	v_add_f32_e32 v9, 0x2c4ff17f, v9
	v_fma_f32 v10, v8, v9, -v10
	v_add_f32_e32 v10, 0xad97e4ac, v10
	v_fma_f32 v9, v8, v10, -v9
	v_add_f32_e32 v9, 0x2ed4c5f6, v9
	v_fma_f32 v10, v8, v9, -v10
	v_add_f32_e32 v10, 0xb00ea7f1, v10
	v_fma_f32 v9, v8, v10, -v9
	v_add_f32_e32 v9, 0x3136c81d, v9
	v_fma_f32 v10, v8, v9, -v10
	v_add_f32_e32 v10, 0xb25f57b4, v10
	v_fma_f32 v9, v8, v10, -v9
	v_add_f32_e32 v9, 0x3381dbb5, v9
	v_fma_f32 v10, v8, v9, -v10
	v_add_f32_e32 v10, 0xb48f631c, v10
	v_fma_f32 v9, v8, v10, -v9
	v_add_f32_e32 v9, 0x3595f925, v9
	v_fma_f32 v10, v8, v9, -v10
	v_add_f32_e32 v10, 0xb694337e, v10
	v_fma_f32 v9, v8, v10, -v9
	v_add_f32_e32 v9, 0x3789fac6, v9
	v_fma_f32 v10, v8, v9, -v10
	v_add_f32_e32 v10, 0xb8715933, v10
	v_fma_f32 v9, v8, v10, -v9
	v_add_f32_e32 v9, 0x3945a8dc, v9
	v_fma_f32 v10, v8, v9, -v10
	v_add_f32_e32 v10, 0xba1717e9, v10
	v_fma_f32 v9, v8, v10, -v9
	v_add_f32_e32 v9, 0x3ad6e3ac, v9
	v_fma_f32 v10, v8, v9, -v10
	v_add_f32_e32 v10, 0xbb8db2f1, v10
	v_fma_f32 v9, v8, v10, -v9
	v_add_f32_e32 v9, 0x3c2ccb10, v9
	v_fma_f32 v10, v8, v9, -v10
	v_add_f32_e32 v10, 0xbcc274f8, v10
	s_mov_b32 s2, 0x3fb8aa3b
	v_fma_f32 v9, v8, v10, -v9
	v_mul_f32_e64 v11, |v5|, s2
	v_add_f32_e32 v9, 0x3d49f456, v9
	v_rndne_f32_e32 v12, v11
	v_fma_f32 v10, v8, v9, -v10
	v_sub_f32_e32 v13, v11, v12
	v_fma_f32 v11, |v5|, s2, -v11
	s_mov_b32 s2, 0x32a5705f
	v_add_f32_e32 v10, 0xbdc25b82, v10
	v_fma_f32 v11, |v5|, s2, v11
	v_fma_f32 v9, v8, v10, -v9
	v_add_f32_e32 v11, v13, v11
	v_add_f32_e32 v9, 0x3e2fbd64, v9
	v_exp_f32_e32 v11, v11
	v_cvt_i32_f32_e32 v12, v12
	v_fma_f32 v10, v8, v9, -v10
	v_add_f32_e32 v10, 0xbe9bff5e, v10
	v_fma_f32 v8, v8, v10, -v9
	s_mov_b32 s2, 0xc2ce8ed0
	v_add_f32_e32 v8, 0x3f2d4275, v8
	v_ldexp_f32 v10, v11, v12
	v_cmp_nlt_f32_e64 vcc, |v5|, s2
	s_mov_b32 s2, 0x42b17218
	v_cndmask_b32_e32 v10, 0, v10, vcc
	v_mov_b32_e32 v11, 0x7f800000
	v_cmp_ngt_f32_e64 vcc, |v5|, s2
	v_sub_f32_e32 v8, v8, v9
	v_cndmask_b32_e32 v5, v11, v10, vcc
	v_mul_f32_e32 v8, 0.5, v8
	v_mul_f32_e32 v8, v5, v8
                                        ; implicit-def: $vgpr5
.LBB16_86:
	s_andn2_saveexec_b64 s[2:3], s[0:1]
	s_cbranch_execz .LBB16_88
; %bb.87:
	v_and_b32_e32 v8, 0x7fffffff, v5
	s_mov_b32 s6, 0x42000000
	v_div_scale_f32 v9, s[0:1], v8, v8, s6
	v_div_scale_f32 v8, vcc, s6, v8, s6
	s_mov_b32 s0, 0x3fb8aa3b
	v_mul_f32_e64 v12, |v5|, s0
	s_mov_b32 s1, 0x32a5705f
	v_rndne_f32_e32 v15, v12
	v_fma_f32 v16, |v5|, s0, -v12
	s_mov_b32 s9, 0xf800000
	s_mov_b32 s10, 0x4f800000
	v_sub_f32_e32 v12, v12, v15
	v_mul_f32_e64 v14, |v5|, s10
	s_mov_b32 s7, 0xc2ce8ed0
	s_mov_b32 s8, 0x42b17218
	v_mov_b32_e32 v10, 0xa2b236d3
	v_rcp_f32_e32 v13, v9
	v_mov_b32_e32 v11, 0x23056dbb
	v_fma_f32 v17, -v9, v13, 1.0
	v_fmac_f32_e32 v13, v17, v13
	v_mul_f32_e32 v17, v8, v13
	v_fma_f32 v18, -v9, v17, v8
	v_fmac_f32_e32 v17, v18, v13
	v_fma_f32 v8, -v9, v17, v8
	v_div_fmas_f32 v8, v8, v13, v17
	v_fma_f32 v13, |v5|, s1, v16
	v_cmp_lt_f32_e64 vcc, |v5|, s9
	v_add_f32_e32 v12, v12, v13
	v_cndmask_b32_e64 v9, |v5|, v14, vcc
	v_cvt_i32_f32_e32 v14, v15
	v_exp_f32_e32 v12, v12
	v_cmp_nlt_f32_e64 s[0:1], |v5|, s7
	v_sqrt_f32_e32 v15, v9
	v_mov_b32_e32 v13, 0x7f800000
	v_ldexp_f32 v12, v12, v14
	v_cndmask_b32_e64 v12, 0, v12, s[0:1]
	v_cmp_ngt_f32_e64 s[0:1], |v5|, s8
	v_add_u32_e32 v16, -1, v15
	v_fma_f32 v17, -v16, v15, v9
	v_cndmask_b32_e64 v12, v13, v12, s[0:1]
	v_div_fixup_f32 v5, v8, |v5|, s6
	v_add_f32_e32 v5, -2.0, v5
	v_fmac_f32_e32 v10, 0xa3056dbb, v5
	v_fmac_f32_e32 v11, v5, v10
	v_add_f32_e32 v8, 0x244df0c1, v11
	v_fma_f32 v10, v5, v8, -v10
	v_add_f32_e32 v10, 0x241f9ee8, v10
	v_fma_f32 v8, v5, v10, -v8
	;; [unrolled: 2-line block ×22, first 2 shown]
	v_add_u32_e32 v10, 1, v15
	v_add_f32_e32 v5, 0x3f4df315, v5
	v_cmp_ge_f32_e64 s[0:1], 0, v17
	v_fma_f32 v11, -v10, v15, v9
	v_sub_f32_e32 v5, v5, v8
	v_cndmask_b32_e64 v8, v15, v16, s[0:1]
	v_cmp_lt_f32_e64 s[0:1], 0, v11
	v_cndmask_b32_e64 v8, v8, v10, s[0:1]
	v_mul_f32_e32 v10, 0x37800000, v8
	v_cndmask_b32_e32 v8, v8, v10, vcc
	v_mov_b32_e32 v10, 0x260
	v_mul_f32_e32 v5, 0.5, v5
	v_cmp_class_f32_e32 vcc, v9, v10
	v_mul_f32_e32 v5, v12, v5
	v_cndmask_b32_e32 v8, v8, v9, vcc
	v_div_scale_f32 v9, s[0:1], v8, v8, v5
	v_div_scale_f32 v10, vcc, v5, v8, v5
	v_rcp_f32_e32 v11, v9
	v_fma_f32 v12, -v9, v11, 1.0
	v_fmac_f32_e32 v11, v12, v11
	v_mul_f32_e32 v12, v10, v11
	v_fma_f32 v13, -v9, v12, v10
	v_fmac_f32_e32 v12, v13, v11
	v_fma_f32 v9, -v9, v12, v10
	v_div_fmas_f32 v9, v9, v11, v12
	v_div_fixup_f32 v8, v9, v8, v5
.LBB16_88:
	s_or_b64 exec, exec, s[2:3]
	global_store_dword v0, v4, s[4:5]
	global_store_dword v1, v6, s[4:5]
	;; [unrolled: 1-line block ×4, first 2 shown]
	s_endpgm
.LBB16_89:
	v_mov_b32_e32 v0, 0
	v_mov_b32_e32 v2, 0
	s_branch .LBB16_95
.LBB16_90:
	v_mov_b32_e32 v0, 0
	v_mov_b32_e32 v2, 0
	s_branch .LBB16_115
.LBB16_91:
	s_mov_b32 s57, 0
	v_mov_b32_e32 v0, 0
	v_mov_b32_e32 v2, 0
	;; [unrolled: 1-line block ×3, first 2 shown]
.LBB16_92:
	s_and_b32 s4, s58, 3
	s_cmp_eq_u32 s4, 0
	s_cbranch_scc1 .LBB16_95
; %bb.93:
	s_lshl_b32 s0, s57, 3
	s_add_u32 s0, s34, s0
	s_addc_u32 s1, s35, 0
	s_add_u32 s0, s0, 0xc4
	s_addc_u32 s1, s1, 0
	s_mul_i32 s2, s57, 12
	s_add_u32 s2, s34, s2
	s_addc_u32 s3, s35, 0
.LBB16_94:                              ; =>This Inner Loop Header: Depth=1
	s_load_dwordx2 s[6:7], s[2:3], 0x4
	s_load_dword s5, s[2:3], 0xc
	s_load_dwordx2 s[8:9], s[0:1], 0x0
	s_add_u32 s2, s2, 12
	s_addc_u32 s3, s3, 0
	s_waitcnt lgkmcnt(0)
	v_mul_hi_u32 v3, s7, v1
	s_add_u32 s0, s0, 8
	s_addc_u32 s1, s1, 0
	s_add_i32 s4, s4, -1
	v_add_u32_e32 v3, v1, v3
	v_lshrrev_b32_e32 v5, s5, v3
	v_mul_lo_u32 v3, v5, s6
	s_cmp_lg_u32 s4, 0
	v_sub_u32_e32 v3, v1, v3
	v_mad_u64_u32 v[0:1], s[6:7], v3, s8, v[0:1]
	v_mad_u64_u32 v[2:3], s[6:7], v3, s9, v[2:3]
	v_mov_b32_e32 v1, v5
	s_cbranch_scc1 .LBB16_94
.LBB16_95:
	s_cbranch_execnz .LBB16_98
.LBB16_96:
	s_waitcnt lgkmcnt(0)
	v_mul_hi_u32 v0, s25, v4
	s_andn2_b64 vcc, exec, s[42:43]
	v_add_u32_e32 v0, v4, v0
	v_lshrrev_b32_e32 v1, s26, v0
	v_mul_lo_u32 v0, v1, s24
	v_sub_u32_e32 v2, v4, v0
	v_mul_lo_u32 v0, v2, s20
	v_mul_lo_u32 v2, v2, s21
	s_cbranch_vccnz .LBB16_98
; %bb.97:
	v_mul_hi_u32 v3, s40, v1
	v_add_u32_e32 v3, v1, v3
	v_lshrrev_b32_e32 v3, s41, v3
	v_mul_lo_u32 v3, v3, s27
	v_sub_u32_e32 v3, v1, v3
	v_mad_u64_u32 v[0:1], s[0:1], v3, s22, v[0:1]
	v_mad_u64_u32 v[2:3], s[0:1], v3, s23, v[2:3]
.LBB16_98:
	s_waitcnt lgkmcnt(0)
	global_load_dword v1, v2, s[18:19]
	s_mov_b32 s0, 0x41000000
                                        ; implicit-def: $vgpr2
	s_waitcnt vmcnt(0)
	v_cmp_le_f32_e64 s[0:1], |v1|, s0
	s_and_saveexec_b64 s[2:3], s[0:1]
	s_xor_b64 s[0:1], exec, s[2:3]
	s_cbranch_execz .LBB16_100
; %bb.99:
	v_fma_f32 v2, |v1|, 0.5, -2.0
	v_mov_b32_e32 v3, 0x24199b15
	v_fmac_f32_e32 v3, 0xa2a2e5b9, v2
	v_mov_b32_e32 v5, 0x22a2e5b9
	v_fmac_f32_e32 v5, v2, v3
	v_add_f32_e32 v5, 0xa58c275c, v5
	v_fma_f32 v3, v2, v5, -v3
	v_add_f32_e32 v3, 0x26f736c5, v3
	v_fma_f32 v5, v2, v3, -v5
	;; [unrolled: 2-line block ×22, first 2 shown]
	v_add_f32_e32 v5, 0xbcc274f8, v5
	s_mov_b32 s2, 0x3fb8aa3b
	v_fma_f32 v3, v2, v5, -v3
	v_mul_f32_e64 v6, |v1|, s2
	v_add_f32_e32 v3, 0x3d49f456, v3
	v_rndne_f32_e32 v7, v6
	v_fma_f32 v5, v2, v3, -v5
	v_sub_f32_e32 v8, v6, v7
	v_fma_f32 v6, |v1|, s2, -v6
	s_mov_b32 s2, 0x32a5705f
	v_add_f32_e32 v5, 0xbdc25b82, v5
	v_fma_f32 v6, |v1|, s2, v6
	v_fma_f32 v3, v2, v5, -v3
	v_add_f32_e32 v6, v8, v6
	v_add_f32_e32 v3, 0x3e2fbd64, v3
	v_exp_f32_e32 v6, v6
	v_cvt_i32_f32_e32 v7, v7
	v_fma_f32 v5, v2, v3, -v5
	v_add_f32_e32 v5, 0xbe9bff5e, v5
	v_fma_f32 v2, v2, v5, -v3
	s_mov_b32 s2, 0xc2ce8ed0
	v_add_f32_e32 v2, 0x3f2d4275, v2
	v_ldexp_f32 v5, v6, v7
	v_cmp_nlt_f32_e64 vcc, |v1|, s2
	s_mov_b32 s2, 0x42b17218
	v_cndmask_b32_e32 v5, 0, v5, vcc
	v_mov_b32_e32 v6, 0x7f800000
	v_cmp_ngt_f32_e64 vcc, |v1|, s2
	v_sub_f32_e32 v2, v2, v3
	v_cndmask_b32_e32 v1, v6, v5, vcc
	v_mul_f32_e32 v2, 0.5, v2
	v_mul_f32_e32 v2, v1, v2
                                        ; implicit-def: $vgpr1
.LBB16_100:
	s_andn2_saveexec_b64 s[2:3], s[0:1]
	s_cbranch_execz .LBB16_102
; %bb.101:
	v_and_b32_e32 v2, 0x7fffffff, v1
	s_mov_b32 s4, 0x42000000
	v_div_scale_f32 v3, s[0:1], v2, v2, s4
	v_div_scale_f32 v2, vcc, s4, v2, s4
	s_mov_b32 s0, 0x3fb8aa3b
	v_mul_f32_e64 v7, |v1|, s0
	s_mov_b32 s1, 0x32a5705f
	v_rndne_f32_e32 v10, v7
	v_fma_f32 v11, |v1|, s0, -v7
	s_mov_b32 s7, 0xf800000
	s_mov_b32 s8, 0x4f800000
	v_sub_f32_e32 v7, v7, v10
	v_mul_f32_e64 v9, |v1|, s8
	s_mov_b32 s5, 0xc2ce8ed0
	s_mov_b32 s6, 0x42b17218
	v_mov_b32_e32 v5, 0xa2b236d3
	v_rcp_f32_e32 v8, v3
	v_mov_b32_e32 v6, 0x23056dbb
	v_fma_f32 v12, -v3, v8, 1.0
	v_fmac_f32_e32 v8, v12, v8
	v_mul_f32_e32 v12, v2, v8
	v_fma_f32 v13, -v3, v12, v2
	v_fmac_f32_e32 v12, v13, v8
	v_fma_f32 v2, -v3, v12, v2
	v_div_fmas_f32 v2, v2, v8, v12
	v_fma_f32 v8, |v1|, s1, v11
	v_cmp_lt_f32_e64 vcc, |v1|, s7
	v_add_f32_e32 v7, v7, v8
	v_cndmask_b32_e64 v3, |v1|, v9, vcc
	v_cvt_i32_f32_e32 v9, v10
	v_exp_f32_e32 v7, v7
	v_cmp_nlt_f32_e64 s[0:1], |v1|, s5
	v_sqrt_f32_e32 v10, v3
	v_mov_b32_e32 v8, 0x7f800000
	v_ldexp_f32 v7, v7, v9
	v_cndmask_b32_e64 v7, 0, v7, s[0:1]
	v_cmp_ngt_f32_e64 s[0:1], |v1|, s6
	v_add_u32_e32 v11, -1, v10
	v_fma_f32 v12, -v11, v10, v3
	v_cndmask_b32_e64 v7, v8, v7, s[0:1]
	v_div_fixup_f32 v1, v2, |v1|, s4
	v_add_f32_e32 v1, -2.0, v1
	v_fmac_f32_e32 v5, 0xa3056dbb, v1
	v_fmac_f32_e32 v6, v1, v5
	v_add_f32_e32 v2, 0x244df0c1, v6
	v_fma_f32 v5, v1, v2, -v5
	v_add_f32_e32 v5, 0x241f9ee8, v5
	v_fma_f32 v2, v1, v5, -v2
	v_add_f32_e32 v2, 0xa5a3005d, v2
	v_fma_f32 v5, v1, v2, -v5
	v_add_f32_e32 v5, 0xa5c5773f, v5
	v_fma_f32 v2, v1, v5, -v2
	v_add_f32_e32 v2, 0x26ff73ed, v2
	v_fma_f32 v5, v1, v2, -v5
	v_add_f32_e32 v5, 0x2789548d, v5
	v_fma_f32 v2, v1, v5, -v2
	v_add_f32_e32 v2, 0xa82c1ff4, v2
	v_fma_f32 v5, v1, v2, -v5
	v_add_f32_e32 v5, 0xa93aecce, v5
	v_fma_f32 v2, v1, v5, -v2
	v_add_f32_e32 v2, 0x288ab7f8, v2
	v_fma_f32 v5, v1, v2, -v5
	v_add_f32_e32 v5, 0x2ad8e463, v5
	v_fma_f32 v2, v1, v5, -v2
	v_add_f32_e32 v2, 0x2b4a1a40, v2
	v_fma_f32 v5, v1, v2, -v5
	v_add_f32_e32 v5, 0xabfc8218, v5
	v_fma_f32 v2, v1, v5, -v2
	v_add_f32_e32 v2, 0xad687eba, v2
	v_fma_f32 v5, v1, v2, -v5
	v_add_f32_e32 v5, 0xae0a88e8, v5
	v_fma_f32 v2, v1, v5, -v2
	v_add_f32_e32 v2, 0x2d5127f5, v2
	v_fma_f32 v5, v1, v2, -v5
	v_add_f32_e32 v5, 0x3007ce66, v5
	v_fma_f32 v2, v1, v5, -v2
	v_add_f32_e32 v2, 0x31696325, v2
	v_fma_f32 v5, v1, v2, -v5
	v_add_f32_e32 v5, 0x32c2b494, v5
	v_fma_f32 v2, v1, v5, -v2
	v_add_f32_e32 v2, 0x345c003f, v2
	v_fma_f32 v5, v1, v2, -v5
	v_add_f32_e32 v5, 0x3642095e, v5
	v_fma_f32 v2, v1, v5, -v2
	v_add_f32_e32 v2, 0x38907d1c, v2
	v_fma_f32 v5, v1, v2, -v5
	v_add_f32_e32 v5, 0x3b5ccc65, v5
	v_fma_f32 v1, v1, v5, -v2
	v_add_u32_e32 v5, 1, v10
	v_add_f32_e32 v1, 0x3f4df315, v1
	v_cmp_ge_f32_e64 s[0:1], 0, v12
	v_fma_f32 v6, -v5, v10, v3
	v_sub_f32_e32 v1, v1, v2
	v_cndmask_b32_e64 v2, v10, v11, s[0:1]
	v_cmp_lt_f32_e64 s[0:1], 0, v6
	v_cndmask_b32_e64 v2, v2, v5, s[0:1]
	v_mul_f32_e32 v5, 0x37800000, v2
	v_cndmask_b32_e32 v2, v2, v5, vcc
	v_mov_b32_e32 v5, 0x260
	v_mul_f32_e32 v1, 0.5, v1
	v_cmp_class_f32_e32 vcc, v3, v5
	v_mul_f32_e32 v1, v7, v1
	v_cndmask_b32_e32 v2, v2, v3, vcc
	v_div_scale_f32 v3, s[0:1], v2, v2, v1
	v_div_scale_f32 v5, vcc, v1, v2, v1
	v_rcp_f32_e32 v6, v3
	v_fma_f32 v7, -v3, v6, 1.0
	v_fmac_f32_e32 v6, v7, v6
	v_mul_f32_e32 v7, v5, v6
	v_fma_f32 v8, -v3, v7, v5
	v_fmac_f32_e32 v7, v8, v6
	v_fma_f32 v3, -v3, v7, v5
	v_div_fmas_f32 v3, v3, v6, v7
	v_div_fixup_f32 v2, v3, v2, v1
.LBB16_102:
	s_or_b64 exec, exec, s[2:3]
	v_add_u32_e32 v4, 0x80, v4
	global_store_dword v0, v2, s[16:17]
	s_or_b64 exec, exec, s[48:49]
	v_cmp_gt_i32_e32 vcc, s55, v4
	s_and_saveexec_b64 s[48:49], vcc
	s_cbranch_execnz .LBB16_15
.LBB16_103:
	s_or_b64 exec, exec, s[48:49]
	v_cmp_gt_i32_e32 vcc, s55, v4
	s_and_saveexec_b64 s[48:49], vcc
	s_cbranch_execz .LBB16_123
.LBB16_104:
	s_andn2_b64 vcc, exec, s[36:37]
	s_cbranch_vccnz .LBB16_109
; %bb.105:
	s_andn2_b64 vcc, exec, s[46:47]
	s_cbranch_vccnz .LBB16_110
; %bb.106:
	s_add_i32 s58, s56, 1
	s_cmp_eq_u32 s54, 2
	s_cbranch_scc1 .LBB16_126
; %bb.107:
	s_and_b32 s57, s58, 28
	v_mov_b32_e32 v2, 0
	s_mov_b32 s59, 0
	s_mov_b64 s[50:51], s[34:35]
	s_mov_b64 s[52:53], s[44:45]
	v_mov_b32_e32 v0, 0
	v_mov_b32_e32 v1, v4
.LBB16_108:                             ; =>This Inner Loop Header: Depth=1
	s_load_dwordx8 s[8:15], s[50:51], 0x4
	s_load_dwordx4 s[28:31], s[50:51], 0x24
	s_load_dwordx8 s[0:7], s[52:53], 0x0
	s_add_u32 s50, s50, 48
	s_addc_u32 s51, s51, 0
	s_waitcnt lgkmcnt(0)
	v_mul_hi_u32 v3, s9, v1
	s_add_i32 s59, s59, 4
	s_add_u32 s52, s52, 32
	s_addc_u32 s53, s53, 0
	v_add_u32_e32 v3, v1, v3
	v_lshrrev_b32_e32 v3, s10, v3
	v_mul_lo_u32 v5, v3, s8
	v_mul_hi_u32 v6, s12, v3
	s_cmp_eq_u32 s57, s59
	v_sub_u32_e32 v1, v1, v5
	v_add_u32_e32 v5, v3, v6
	v_mul_lo_u32 v6, v1, s0
	v_mul_lo_u32 v7, v1, s1
	v_lshrrev_b32_e32 v1, s13, v5
	v_mul_lo_u32 v5, v1, s11
	v_mul_hi_u32 v8, s15, v1
	v_sub_u32_e32 v3, v3, v5
	v_add_u32_e32 v5, v1, v8
	v_lshrrev_b32_e32 v5, s28, v5
	v_mul_hi_u32 v9, s30, v5
	v_mul_lo_u32 v10, v5, s14
	v_mul_lo_u32 v8, v3, s2
	v_mul_lo_u32 v3, v3, s3
	v_sub_u32_e32 v10, v1, v10
	v_add_u32_e32 v1, v5, v9
	v_lshrrev_b32_e32 v1, s31, v1
	v_mul_lo_u32 v9, v1, s29
	v_mul_lo_u32 v11, v10, s4
	;; [unrolled: 1-line block ×3, first 2 shown]
	v_add3_u32 v0, v6, v0, v8
	v_sub_u32_e32 v5, v5, v9
	v_mul_lo_u32 v9, v5, s6
	v_mul_lo_u32 v5, v5, s7
	v_add3_u32 v2, v7, v2, v3
	v_add3_u32 v0, v11, v0, v9
	;; [unrolled: 1-line block ×3, first 2 shown]
	s_cbranch_scc0 .LBB16_108
	s_branch .LBB16_127
.LBB16_109:
                                        ; implicit-def: $vgpr0
                                        ; implicit-def: $vgpr2
	s_branch .LBB16_131
.LBB16_110:
	v_mov_b32_e32 v0, 0
	v_mov_b32_e32 v2, 0
	s_branch .LBB16_130
.LBB16_111:
	s_mov_b32 s57, 0
	v_mov_b32_e32 v0, 0
	v_mov_b32_e32 v2, 0
	;; [unrolled: 1-line block ×3, first 2 shown]
.LBB16_112:
	s_and_b32 s4, s58, 3
	s_cmp_eq_u32 s4, 0
	s_cbranch_scc1 .LBB16_115
; %bb.113:
	s_lshl_b32 s0, s57, 3
	s_add_u32 s0, s34, s0
	s_addc_u32 s1, s35, 0
	s_add_u32 s0, s0, 0xc4
	s_addc_u32 s1, s1, 0
	s_mul_i32 s2, s57, 12
	s_add_u32 s2, s34, s2
	s_addc_u32 s3, s35, 0
.LBB16_114:                             ; =>This Inner Loop Header: Depth=1
	s_load_dwordx2 s[6:7], s[2:3], 0x4
	s_load_dword s5, s[2:3], 0xc
	s_load_dwordx2 s[8:9], s[0:1], 0x0
	s_add_u32 s2, s2, 12
	s_addc_u32 s3, s3, 0
	s_waitcnt lgkmcnt(0)
	v_mul_hi_u32 v3, s7, v1
	s_add_u32 s0, s0, 8
	s_addc_u32 s1, s1, 0
	s_add_i32 s4, s4, -1
	v_add_u32_e32 v3, v1, v3
	v_lshrrev_b32_e32 v5, s5, v3
	v_mul_lo_u32 v3, v5, s6
	s_cmp_lg_u32 s4, 0
	v_sub_u32_e32 v3, v1, v3
	v_mad_u64_u32 v[0:1], s[6:7], v3, s8, v[0:1]
	v_mad_u64_u32 v[2:3], s[6:7], v3, s9, v[2:3]
	v_mov_b32_e32 v1, v5
	s_cbranch_scc1 .LBB16_114
.LBB16_115:
	s_cbranch_execnz .LBB16_118
.LBB16_116:
	s_waitcnt lgkmcnt(0)
	v_mul_hi_u32 v0, s25, v4
	s_andn2_b64 vcc, exec, s[42:43]
	v_add_u32_e32 v0, v4, v0
	v_lshrrev_b32_e32 v1, s26, v0
	v_mul_lo_u32 v0, v1, s24
	v_sub_u32_e32 v2, v4, v0
	v_mul_lo_u32 v0, v2, s20
	v_mul_lo_u32 v2, v2, s21
	s_cbranch_vccnz .LBB16_118
; %bb.117:
	v_mul_hi_u32 v3, s40, v1
	v_add_u32_e32 v3, v1, v3
	v_lshrrev_b32_e32 v3, s41, v3
	v_mul_lo_u32 v3, v3, s27
	v_sub_u32_e32 v3, v1, v3
	v_mad_u64_u32 v[0:1], s[0:1], v3, s22, v[0:1]
	v_mad_u64_u32 v[2:3], s[0:1], v3, s23, v[2:3]
.LBB16_118:
	s_waitcnt lgkmcnt(0)
	global_load_dword v1, v2, s[18:19]
	s_mov_b32 s0, 0x41000000
                                        ; implicit-def: $vgpr2
	s_waitcnt vmcnt(0)
	v_cmp_le_f32_e64 s[0:1], |v1|, s0
	s_and_saveexec_b64 s[2:3], s[0:1]
	s_xor_b64 s[0:1], exec, s[2:3]
	s_cbranch_execz .LBB16_120
; %bb.119:
	v_fma_f32 v2, |v1|, 0.5, -2.0
	v_mov_b32_e32 v3, 0x24199b15
	v_fmac_f32_e32 v3, 0xa2a2e5b9, v2
	v_mov_b32_e32 v5, 0x22a2e5b9
	v_fmac_f32_e32 v5, v2, v3
	v_add_f32_e32 v5, 0xa58c275c, v5
	v_fma_f32 v3, v2, v5, -v3
	v_add_f32_e32 v3, 0x26f736c5, v3
	v_fma_f32 v5, v2, v3, -v5
	;; [unrolled: 2-line block ×22, first 2 shown]
	v_add_f32_e32 v5, 0xbcc274f8, v5
	s_mov_b32 s2, 0x3fb8aa3b
	v_fma_f32 v3, v2, v5, -v3
	v_mul_f32_e64 v6, |v1|, s2
	v_add_f32_e32 v3, 0x3d49f456, v3
	v_rndne_f32_e32 v7, v6
	v_fma_f32 v5, v2, v3, -v5
	v_sub_f32_e32 v8, v6, v7
	v_fma_f32 v6, |v1|, s2, -v6
	s_mov_b32 s2, 0x32a5705f
	v_add_f32_e32 v5, 0xbdc25b82, v5
	v_fma_f32 v6, |v1|, s2, v6
	v_fma_f32 v3, v2, v5, -v3
	v_add_f32_e32 v6, v8, v6
	v_add_f32_e32 v3, 0x3e2fbd64, v3
	v_exp_f32_e32 v6, v6
	v_cvt_i32_f32_e32 v7, v7
	v_fma_f32 v5, v2, v3, -v5
	v_add_f32_e32 v5, 0xbe9bff5e, v5
	v_fma_f32 v2, v2, v5, -v3
	s_mov_b32 s2, 0xc2ce8ed0
	v_add_f32_e32 v2, 0x3f2d4275, v2
	v_ldexp_f32 v5, v6, v7
	v_cmp_nlt_f32_e64 vcc, |v1|, s2
	s_mov_b32 s2, 0x42b17218
	v_cndmask_b32_e32 v5, 0, v5, vcc
	v_mov_b32_e32 v6, 0x7f800000
	v_cmp_ngt_f32_e64 vcc, |v1|, s2
	v_sub_f32_e32 v2, v2, v3
	v_cndmask_b32_e32 v1, v6, v5, vcc
	v_mul_f32_e32 v2, 0.5, v2
	v_mul_f32_e32 v2, v1, v2
                                        ; implicit-def: $vgpr1
.LBB16_120:
	s_andn2_saveexec_b64 s[2:3], s[0:1]
	s_cbranch_execz .LBB16_122
; %bb.121:
	v_and_b32_e32 v2, 0x7fffffff, v1
	s_mov_b32 s4, 0x42000000
	v_div_scale_f32 v3, s[0:1], v2, v2, s4
	v_div_scale_f32 v2, vcc, s4, v2, s4
	s_mov_b32 s0, 0x3fb8aa3b
	v_mul_f32_e64 v7, |v1|, s0
	s_mov_b32 s1, 0x32a5705f
	v_rndne_f32_e32 v10, v7
	v_fma_f32 v11, |v1|, s0, -v7
	s_mov_b32 s7, 0xf800000
	s_mov_b32 s8, 0x4f800000
	v_sub_f32_e32 v7, v7, v10
	v_mul_f32_e64 v9, |v1|, s8
	s_mov_b32 s5, 0xc2ce8ed0
	s_mov_b32 s6, 0x42b17218
	v_mov_b32_e32 v5, 0xa2b236d3
	v_rcp_f32_e32 v8, v3
	v_mov_b32_e32 v6, 0x23056dbb
	v_fma_f32 v12, -v3, v8, 1.0
	v_fmac_f32_e32 v8, v12, v8
	v_mul_f32_e32 v12, v2, v8
	v_fma_f32 v13, -v3, v12, v2
	v_fmac_f32_e32 v12, v13, v8
	v_fma_f32 v2, -v3, v12, v2
	v_div_fmas_f32 v2, v2, v8, v12
	v_fma_f32 v8, |v1|, s1, v11
	v_cmp_lt_f32_e64 vcc, |v1|, s7
	v_add_f32_e32 v7, v7, v8
	v_cndmask_b32_e64 v3, |v1|, v9, vcc
	v_cvt_i32_f32_e32 v9, v10
	v_exp_f32_e32 v7, v7
	v_cmp_nlt_f32_e64 s[0:1], |v1|, s5
	v_sqrt_f32_e32 v10, v3
	v_mov_b32_e32 v8, 0x7f800000
	v_ldexp_f32 v7, v7, v9
	v_cndmask_b32_e64 v7, 0, v7, s[0:1]
	v_cmp_ngt_f32_e64 s[0:1], |v1|, s6
	v_add_u32_e32 v11, -1, v10
	v_fma_f32 v12, -v11, v10, v3
	v_cndmask_b32_e64 v7, v8, v7, s[0:1]
	v_div_fixup_f32 v1, v2, |v1|, s4
	v_add_f32_e32 v1, -2.0, v1
	v_fmac_f32_e32 v5, 0xa3056dbb, v1
	v_fmac_f32_e32 v6, v1, v5
	v_add_f32_e32 v2, 0x244df0c1, v6
	v_fma_f32 v5, v1, v2, -v5
	v_add_f32_e32 v5, 0x241f9ee8, v5
	v_fma_f32 v2, v1, v5, -v2
	;; [unrolled: 2-line block ×22, first 2 shown]
	v_add_u32_e32 v5, 1, v10
	v_add_f32_e32 v1, 0x3f4df315, v1
	v_cmp_ge_f32_e64 s[0:1], 0, v12
	v_fma_f32 v6, -v5, v10, v3
	v_sub_f32_e32 v1, v1, v2
	v_cndmask_b32_e64 v2, v10, v11, s[0:1]
	v_cmp_lt_f32_e64 s[0:1], 0, v6
	v_cndmask_b32_e64 v2, v2, v5, s[0:1]
	v_mul_f32_e32 v5, 0x37800000, v2
	v_cndmask_b32_e32 v2, v2, v5, vcc
	v_mov_b32_e32 v5, 0x260
	v_mul_f32_e32 v1, 0.5, v1
	v_cmp_class_f32_e32 vcc, v3, v5
	v_mul_f32_e32 v1, v7, v1
	v_cndmask_b32_e32 v2, v2, v3, vcc
	v_div_scale_f32 v3, s[0:1], v2, v2, v1
	v_div_scale_f32 v5, vcc, v1, v2, v1
	v_rcp_f32_e32 v6, v3
	v_fma_f32 v7, -v3, v6, 1.0
	v_fmac_f32_e32 v6, v7, v6
	v_mul_f32_e32 v7, v5, v6
	v_fma_f32 v8, -v3, v7, v5
	v_fmac_f32_e32 v7, v8, v6
	v_fma_f32 v3, -v3, v7, v5
	v_div_fmas_f32 v3, v3, v6, v7
	v_div_fixup_f32 v2, v3, v2, v1
.LBB16_122:
	s_or_b64 exec, exec, s[2:3]
	v_add_u32_e32 v4, 0x80, v4
	global_store_dword v0, v2, s[16:17]
	s_or_b64 exec, exec, s[48:49]
	v_cmp_gt_i32_e32 vcc, s55, v4
	s_and_saveexec_b64 s[48:49], vcc
	s_cbranch_execnz .LBB16_104
.LBB16_123:
	s_or_b64 exec, exec, s[48:49]
	v_cmp_gt_i32_e32 vcc, s55, v4
	s_and_saveexec_b64 s[48:49], vcc
	s_cbranch_execnz .LBB16_138
.LBB16_124:
	s_or_b64 exec, exec, s[48:49]
                                        ; implicit-def: $vgpr13
                                        ; implicit-def: $vgpr4
	s_andn2_saveexec_b64 s[0:1], s[38:39]
	s_cbranch_execnz .LBB16_8
.LBB16_125:
	s_endpgm
.LBB16_126:
	s_mov_b32 s57, 0
	v_mov_b32_e32 v0, 0
	v_mov_b32_e32 v2, 0
	;; [unrolled: 1-line block ×3, first 2 shown]
.LBB16_127:
	s_and_b32 s4, s58, 3
	s_cmp_eq_u32 s4, 0
	s_cbranch_scc1 .LBB16_130
; %bb.128:
	s_lshl_b32 s0, s57, 3
	s_add_u32 s0, s34, s0
	s_addc_u32 s1, s35, 0
	s_add_u32 s0, s0, 0xc4
	s_addc_u32 s1, s1, 0
	s_mul_i32 s2, s57, 12
	s_add_u32 s2, s34, s2
	s_addc_u32 s3, s35, 0
.LBB16_129:                             ; =>This Inner Loop Header: Depth=1
	s_load_dwordx2 s[6:7], s[2:3], 0x4
	s_load_dword s5, s[2:3], 0xc
	s_load_dwordx2 s[8:9], s[0:1], 0x0
	s_add_u32 s2, s2, 12
	s_addc_u32 s3, s3, 0
	s_waitcnt lgkmcnt(0)
	v_mul_hi_u32 v3, s7, v1
	s_add_u32 s0, s0, 8
	s_addc_u32 s1, s1, 0
	s_add_i32 s4, s4, -1
	v_add_u32_e32 v3, v1, v3
	v_lshrrev_b32_e32 v5, s5, v3
	v_mul_lo_u32 v3, v5, s6
	s_cmp_lg_u32 s4, 0
	v_sub_u32_e32 v3, v1, v3
	v_mad_u64_u32 v[0:1], s[6:7], v3, s8, v[0:1]
	v_mad_u64_u32 v[2:3], s[6:7], v3, s9, v[2:3]
	v_mov_b32_e32 v1, v5
	s_cbranch_scc1 .LBB16_129
.LBB16_130:
	s_cbranch_execnz .LBB16_133
.LBB16_131:
	s_waitcnt lgkmcnt(0)
	v_mul_hi_u32 v0, s25, v4
	s_andn2_b64 vcc, exec, s[42:43]
	v_add_u32_e32 v0, v4, v0
	v_lshrrev_b32_e32 v1, s26, v0
	v_mul_lo_u32 v0, v1, s24
	v_sub_u32_e32 v2, v4, v0
	v_mul_lo_u32 v0, v2, s20
	v_mul_lo_u32 v2, v2, s21
	s_cbranch_vccnz .LBB16_133
; %bb.132:
	v_mul_hi_u32 v3, s40, v1
	v_add_u32_e32 v3, v1, v3
	v_lshrrev_b32_e32 v3, s41, v3
	v_mul_lo_u32 v3, v3, s27
	v_sub_u32_e32 v3, v1, v3
	v_mad_u64_u32 v[0:1], s[0:1], v3, s22, v[0:1]
	v_mad_u64_u32 v[2:3], s[0:1], v3, s23, v[2:3]
.LBB16_133:
	s_waitcnt lgkmcnt(0)
	global_load_dword v1, v2, s[18:19]
	s_mov_b32 s0, 0x41000000
                                        ; implicit-def: $vgpr2
	s_waitcnt vmcnt(0)
	v_cmp_le_f32_e64 s[0:1], |v1|, s0
	s_and_saveexec_b64 s[2:3], s[0:1]
	s_xor_b64 s[0:1], exec, s[2:3]
	s_cbranch_execz .LBB16_135
; %bb.134:
	v_fma_f32 v2, |v1|, 0.5, -2.0
	v_mov_b32_e32 v3, 0x24199b15
	v_fmac_f32_e32 v3, 0xa2a2e5b9, v2
	v_mov_b32_e32 v5, 0x22a2e5b9
	v_fmac_f32_e32 v5, v2, v3
	v_add_f32_e32 v5, 0xa58c275c, v5
	v_fma_f32 v3, v2, v5, -v3
	v_add_f32_e32 v3, 0x26f736c5, v3
	v_fma_f32 v5, v2, v3, -v5
	;; [unrolled: 2-line block ×22, first 2 shown]
	v_add_f32_e32 v5, 0xbcc274f8, v5
	s_mov_b32 s2, 0x3fb8aa3b
	v_fma_f32 v3, v2, v5, -v3
	v_mul_f32_e64 v6, |v1|, s2
	v_add_f32_e32 v3, 0x3d49f456, v3
	v_rndne_f32_e32 v7, v6
	v_fma_f32 v5, v2, v3, -v5
	v_sub_f32_e32 v8, v6, v7
	v_fma_f32 v6, |v1|, s2, -v6
	s_mov_b32 s2, 0x32a5705f
	v_add_f32_e32 v5, 0xbdc25b82, v5
	v_fma_f32 v6, |v1|, s2, v6
	v_fma_f32 v3, v2, v5, -v3
	v_add_f32_e32 v6, v8, v6
	v_add_f32_e32 v3, 0x3e2fbd64, v3
	v_exp_f32_e32 v6, v6
	v_cvt_i32_f32_e32 v7, v7
	v_fma_f32 v5, v2, v3, -v5
	v_add_f32_e32 v5, 0xbe9bff5e, v5
	v_fma_f32 v2, v2, v5, -v3
	s_mov_b32 s2, 0xc2ce8ed0
	v_add_f32_e32 v2, 0x3f2d4275, v2
	v_ldexp_f32 v5, v6, v7
	v_cmp_nlt_f32_e64 vcc, |v1|, s2
	s_mov_b32 s2, 0x42b17218
	v_cndmask_b32_e32 v5, 0, v5, vcc
	v_mov_b32_e32 v6, 0x7f800000
	v_cmp_ngt_f32_e64 vcc, |v1|, s2
	v_sub_f32_e32 v2, v2, v3
	v_cndmask_b32_e32 v1, v6, v5, vcc
	v_mul_f32_e32 v2, 0.5, v2
	v_mul_f32_e32 v2, v1, v2
                                        ; implicit-def: $vgpr1
.LBB16_135:
	s_andn2_saveexec_b64 s[2:3], s[0:1]
	s_cbranch_execz .LBB16_137
; %bb.136:
	v_and_b32_e32 v2, 0x7fffffff, v1
	s_mov_b32 s4, 0x42000000
	v_div_scale_f32 v3, s[0:1], v2, v2, s4
	v_div_scale_f32 v2, vcc, s4, v2, s4
	s_mov_b32 s0, 0x3fb8aa3b
	v_mul_f32_e64 v7, |v1|, s0
	s_mov_b32 s1, 0x32a5705f
	v_rndne_f32_e32 v10, v7
	v_fma_f32 v11, |v1|, s0, -v7
	s_mov_b32 s7, 0xf800000
	s_mov_b32 s8, 0x4f800000
	v_sub_f32_e32 v7, v7, v10
	v_mul_f32_e64 v9, |v1|, s8
	s_mov_b32 s5, 0xc2ce8ed0
	s_mov_b32 s6, 0x42b17218
	v_mov_b32_e32 v5, 0xa2b236d3
	v_rcp_f32_e32 v8, v3
	v_mov_b32_e32 v6, 0x23056dbb
	v_fma_f32 v12, -v3, v8, 1.0
	v_fmac_f32_e32 v8, v12, v8
	v_mul_f32_e32 v12, v2, v8
	v_fma_f32 v13, -v3, v12, v2
	v_fmac_f32_e32 v12, v13, v8
	v_fma_f32 v2, -v3, v12, v2
	v_div_fmas_f32 v2, v2, v8, v12
	v_fma_f32 v8, |v1|, s1, v11
	v_cmp_lt_f32_e64 vcc, |v1|, s7
	v_add_f32_e32 v7, v7, v8
	v_cndmask_b32_e64 v3, |v1|, v9, vcc
	v_cvt_i32_f32_e32 v9, v10
	v_exp_f32_e32 v7, v7
	v_cmp_nlt_f32_e64 s[0:1], |v1|, s5
	v_sqrt_f32_e32 v10, v3
	v_mov_b32_e32 v8, 0x7f800000
	v_ldexp_f32 v7, v7, v9
	v_cndmask_b32_e64 v7, 0, v7, s[0:1]
	v_cmp_ngt_f32_e64 s[0:1], |v1|, s6
	v_add_u32_e32 v11, -1, v10
	v_fma_f32 v12, -v11, v10, v3
	v_cndmask_b32_e64 v7, v8, v7, s[0:1]
	v_div_fixup_f32 v1, v2, |v1|, s4
	v_add_f32_e32 v1, -2.0, v1
	v_fmac_f32_e32 v5, 0xa3056dbb, v1
	v_fmac_f32_e32 v6, v1, v5
	v_add_f32_e32 v2, 0x244df0c1, v6
	v_fma_f32 v5, v1, v2, -v5
	v_add_f32_e32 v5, 0x241f9ee8, v5
	v_fma_f32 v2, v1, v5, -v2
	;; [unrolled: 2-line block ×22, first 2 shown]
	v_add_u32_e32 v5, 1, v10
	v_add_f32_e32 v1, 0x3f4df315, v1
	v_cmp_ge_f32_e64 s[0:1], 0, v12
	v_fma_f32 v6, -v5, v10, v3
	v_sub_f32_e32 v1, v1, v2
	v_cndmask_b32_e64 v2, v10, v11, s[0:1]
	v_cmp_lt_f32_e64 s[0:1], 0, v6
	v_cndmask_b32_e64 v2, v2, v5, s[0:1]
	v_mul_f32_e32 v5, 0x37800000, v2
	v_cndmask_b32_e32 v2, v2, v5, vcc
	v_mov_b32_e32 v5, 0x260
	v_mul_f32_e32 v1, 0.5, v1
	v_cmp_class_f32_e32 vcc, v3, v5
	v_mul_f32_e32 v1, v7, v1
	v_cndmask_b32_e32 v2, v2, v3, vcc
	v_div_scale_f32 v3, s[0:1], v2, v2, v1
	v_div_scale_f32 v5, vcc, v1, v2, v1
	v_rcp_f32_e32 v6, v3
	v_fma_f32 v7, -v3, v6, 1.0
	v_fmac_f32_e32 v6, v7, v6
	v_mul_f32_e32 v7, v5, v6
	v_fma_f32 v8, -v3, v7, v5
	v_fmac_f32_e32 v7, v8, v6
	v_fma_f32 v3, -v3, v7, v5
	v_div_fmas_f32 v3, v3, v6, v7
	v_div_fixup_f32 v2, v3, v2, v1
.LBB16_137:
	s_or_b64 exec, exec, s[2:3]
	v_add_u32_e32 v4, 0x80, v4
	global_store_dword v0, v2, s[16:17]
	s_or_b64 exec, exec, s[48:49]
	v_cmp_gt_i32_e32 vcc, s55, v4
	s_and_saveexec_b64 s[48:49], vcc
	s_cbranch_execz .LBB16_124
.LBB16_138:
	s_andn2_b64 vcc, exec, s[36:37]
	s_cbranch_vccnz .LBB16_143
; %bb.139:
	s_andn2_b64 vcc, exec, s[46:47]
	s_cbranch_vccnz .LBB16_144
; %bb.140:
	s_add_i32 s56, s56, 1
	s_cmp_eq_u32 s54, 2
	s_cbranch_scc1 .LBB16_145
; %bb.141:
	s_and_b32 s50, s56, 28
	v_mov_b32_e32 v2, 0
	s_mov_b32 s51, 0
	s_mov_b64 s[46:47], s[34:35]
	v_mov_b32_e32 v0, 0
	v_mov_b32_e32 v1, v4
.LBB16_142:                             ; =>This Inner Loop Header: Depth=1
	s_load_dwordx8 s[8:15], s[46:47], 0x4
	s_load_dwordx4 s[28:31], s[46:47], 0x24
	s_load_dwordx8 s[0:7], s[44:45], 0x0
	s_add_u32 s46, s46, 48
	s_addc_u32 s47, s47, 0
	s_waitcnt lgkmcnt(0)
	v_mul_hi_u32 v3, s9, v1
	s_add_i32 s51, s51, 4
	s_add_u32 s44, s44, 32
	s_addc_u32 s45, s45, 0
	v_add_u32_e32 v3, v1, v3
	v_lshrrev_b32_e32 v3, s10, v3
	v_mul_lo_u32 v5, v3, s8
	v_mul_hi_u32 v6, s12, v3
	s_cmp_eq_u32 s50, s51
	v_sub_u32_e32 v1, v1, v5
	v_add_u32_e32 v5, v3, v6
	v_mul_lo_u32 v6, v1, s0
	v_mul_lo_u32 v7, v1, s1
	v_lshrrev_b32_e32 v1, s13, v5
	v_mul_lo_u32 v5, v1, s11
	v_mul_hi_u32 v8, s15, v1
	v_sub_u32_e32 v3, v3, v5
	v_add_u32_e32 v5, v1, v8
	v_lshrrev_b32_e32 v5, s28, v5
	v_mul_hi_u32 v9, s30, v5
	v_mul_lo_u32 v10, v5, s14
	v_mul_lo_u32 v8, v3, s2
	;; [unrolled: 1-line block ×3, first 2 shown]
	v_sub_u32_e32 v10, v1, v10
	v_add_u32_e32 v1, v5, v9
	v_lshrrev_b32_e32 v1, s31, v1
	v_mul_lo_u32 v9, v1, s29
	v_mul_lo_u32 v11, v10, s4
	;; [unrolled: 1-line block ×3, first 2 shown]
	v_add3_u32 v0, v6, v0, v8
	v_sub_u32_e32 v5, v5, v9
	v_mul_lo_u32 v9, v5, s6
	v_mul_lo_u32 v5, v5, s7
	v_add3_u32 v2, v7, v2, v3
	v_add3_u32 v0, v11, v0, v9
	;; [unrolled: 1-line block ×3, first 2 shown]
	s_cbranch_scc0 .LBB16_142
	s_branch .LBB16_146
.LBB16_143:
                                        ; implicit-def: $vgpr0
                                        ; implicit-def: $vgpr2
	s_branch .LBB16_150
.LBB16_144:
	v_mov_b32_e32 v0, 0
	v_mov_b32_e32 v2, 0
	s_branch .LBB16_149
.LBB16_145:
	s_mov_b32 s50, 0
	v_mov_b32_e32 v0, 0
	v_mov_b32_e32 v2, 0
	;; [unrolled: 1-line block ×3, first 2 shown]
.LBB16_146:
	s_and_b32 s4, s56, 3
	s_cmp_eq_u32 s4, 0
	s_cbranch_scc1 .LBB16_149
; %bb.147:
	s_lshl_b32 s0, s50, 3
	s_add_u32 s0, s34, s0
	s_addc_u32 s1, s35, 0
	s_add_u32 s0, s0, 0xc4
	s_addc_u32 s1, s1, 0
	s_mul_i32 s2, s50, 12
	s_add_u32 s2, s34, s2
	s_addc_u32 s3, s35, 0
.LBB16_148:                             ; =>This Inner Loop Header: Depth=1
	s_load_dwordx2 s[6:7], s[2:3], 0x4
	s_load_dword s5, s[2:3], 0xc
	s_load_dwordx2 s[8:9], s[0:1], 0x0
	s_add_u32 s2, s2, 12
	s_addc_u32 s3, s3, 0
	s_waitcnt lgkmcnt(0)
	v_mul_hi_u32 v3, s7, v1
	s_add_u32 s0, s0, 8
	s_addc_u32 s1, s1, 0
	s_add_i32 s4, s4, -1
	v_add_u32_e32 v3, v1, v3
	v_lshrrev_b32_e32 v5, s5, v3
	v_mul_lo_u32 v3, v5, s6
	s_cmp_lg_u32 s4, 0
	v_sub_u32_e32 v3, v1, v3
	v_mad_u64_u32 v[0:1], s[6:7], v3, s8, v[0:1]
	v_mad_u64_u32 v[2:3], s[6:7], v3, s9, v[2:3]
	v_mov_b32_e32 v1, v5
	s_cbranch_scc1 .LBB16_148
.LBB16_149:
	s_cbranch_execnz .LBB16_152
.LBB16_150:
	s_waitcnt lgkmcnt(0)
	v_mul_hi_u32 v0, s25, v4
	s_andn2_b64 vcc, exec, s[42:43]
	v_add_u32_e32 v0, v4, v0
	v_lshrrev_b32_e32 v1, s26, v0
	v_mul_lo_u32 v0, v1, s24
	v_sub_u32_e32 v2, v4, v0
	v_mul_lo_u32 v0, v2, s20
	v_mul_lo_u32 v2, v2, s21
	s_cbranch_vccnz .LBB16_152
; %bb.151:
	v_mul_hi_u32 v3, s40, v1
	v_add_u32_e32 v3, v1, v3
	v_lshrrev_b32_e32 v3, s41, v3
	v_mul_lo_u32 v3, v3, s27
	v_sub_u32_e32 v3, v1, v3
	v_mad_u64_u32 v[0:1], s[0:1], v3, s22, v[0:1]
	v_mad_u64_u32 v[2:3], s[0:1], v3, s23, v[2:3]
.LBB16_152:
	s_waitcnt lgkmcnt(0)
	global_load_dword v1, v2, s[18:19]
	s_mov_b32 s0, 0x41000000
                                        ; implicit-def: $vgpr2
	s_waitcnt vmcnt(0)
	v_cmp_le_f32_e64 s[0:1], |v1|, s0
	s_and_saveexec_b64 s[2:3], s[0:1]
	s_xor_b64 s[0:1], exec, s[2:3]
	s_cbranch_execz .LBB16_154
; %bb.153:
	v_fma_f32 v2, |v1|, 0.5, -2.0
	v_mov_b32_e32 v3, 0x24199b15
	v_fmac_f32_e32 v3, 0xa2a2e5b9, v2
	v_mov_b32_e32 v4, 0x22a2e5b9
	v_fmac_f32_e32 v4, v2, v3
	v_add_f32_e32 v4, 0xa58c275c, v4
	v_fma_f32 v3, v2, v4, -v3
	v_add_f32_e32 v3, 0x26f736c5, v3
	v_fma_f32 v4, v2, v3, -v4
	;; [unrolled: 2-line block ×22, first 2 shown]
	v_add_f32_e32 v4, 0xbcc274f8, v4
	s_mov_b32 s2, 0x3fb8aa3b
	v_fma_f32 v3, v2, v4, -v3
	v_mul_f32_e64 v5, |v1|, s2
	v_add_f32_e32 v3, 0x3d49f456, v3
	v_rndne_f32_e32 v6, v5
	v_fma_f32 v4, v2, v3, -v4
	v_sub_f32_e32 v7, v5, v6
	v_fma_f32 v5, |v1|, s2, -v5
	s_mov_b32 s2, 0x32a5705f
	v_add_f32_e32 v4, 0xbdc25b82, v4
	v_fma_f32 v5, |v1|, s2, v5
	v_fma_f32 v3, v2, v4, -v3
	v_add_f32_e32 v5, v7, v5
	v_add_f32_e32 v3, 0x3e2fbd64, v3
	v_exp_f32_e32 v5, v5
	v_cvt_i32_f32_e32 v6, v6
	v_fma_f32 v4, v2, v3, -v4
	v_add_f32_e32 v4, 0xbe9bff5e, v4
	v_fma_f32 v2, v2, v4, -v3
	s_mov_b32 s2, 0xc2ce8ed0
	v_add_f32_e32 v2, 0x3f2d4275, v2
	v_ldexp_f32 v4, v5, v6
	v_cmp_nlt_f32_e64 vcc, |v1|, s2
	s_mov_b32 s2, 0x42b17218
	v_cndmask_b32_e32 v4, 0, v4, vcc
	v_mov_b32_e32 v5, 0x7f800000
	v_cmp_ngt_f32_e64 vcc, |v1|, s2
	v_sub_f32_e32 v2, v2, v3
	v_cndmask_b32_e32 v1, v5, v4, vcc
	v_mul_f32_e32 v2, 0.5, v2
	v_mul_f32_e32 v2, v1, v2
                                        ; implicit-def: $vgpr1
.LBB16_154:
	s_andn2_saveexec_b64 s[2:3], s[0:1]
	s_cbranch_execz .LBB16_156
; %bb.155:
	v_and_b32_e32 v2, 0x7fffffff, v1
	s_mov_b32 s4, 0x42000000
	v_div_scale_f32 v3, s[0:1], v2, v2, s4
	v_div_scale_f32 v2, vcc, s4, v2, s4
	s_mov_b32 s0, 0x3fb8aa3b
	v_mul_f32_e64 v6, |v1|, s0
	s_mov_b32 s1, 0x32a5705f
	v_rndne_f32_e32 v9, v6
	v_fma_f32 v10, |v1|, s0, -v6
	s_mov_b32 s7, 0xf800000
	s_mov_b32 s8, 0x4f800000
	v_sub_f32_e32 v6, v6, v9
	v_mul_f32_e64 v8, |v1|, s8
	s_mov_b32 s5, 0xc2ce8ed0
	s_mov_b32 s6, 0x42b17218
	v_mov_b32_e32 v4, 0xa2b236d3
	v_rcp_f32_e32 v7, v3
	v_mov_b32_e32 v5, 0x23056dbb
	v_fma_f32 v11, -v3, v7, 1.0
	v_fmac_f32_e32 v7, v11, v7
	v_mul_f32_e32 v11, v2, v7
	v_fma_f32 v12, -v3, v11, v2
	v_fmac_f32_e32 v11, v12, v7
	v_fma_f32 v2, -v3, v11, v2
	v_div_fmas_f32 v2, v2, v7, v11
	v_fma_f32 v7, |v1|, s1, v10
	v_cmp_lt_f32_e64 vcc, |v1|, s7
	v_add_f32_e32 v6, v6, v7
	v_cndmask_b32_e64 v3, |v1|, v8, vcc
	v_cvt_i32_f32_e32 v8, v9
	v_exp_f32_e32 v6, v6
	v_cmp_nlt_f32_e64 s[0:1], |v1|, s5
	v_sqrt_f32_e32 v9, v3
	v_mov_b32_e32 v7, 0x7f800000
	v_ldexp_f32 v6, v6, v8
	v_cndmask_b32_e64 v6, 0, v6, s[0:1]
	v_cmp_ngt_f32_e64 s[0:1], |v1|, s6
	v_add_u32_e32 v10, -1, v9
	v_fma_f32 v11, -v10, v9, v3
	v_cndmask_b32_e64 v6, v7, v6, s[0:1]
	v_div_fixup_f32 v1, v2, |v1|, s4
	v_add_f32_e32 v1, -2.0, v1
	v_fmac_f32_e32 v4, 0xa3056dbb, v1
	v_fmac_f32_e32 v5, v1, v4
	v_add_f32_e32 v2, 0x244df0c1, v5
	v_fma_f32 v4, v1, v2, -v4
	v_add_f32_e32 v4, 0x241f9ee8, v4
	v_fma_f32 v2, v1, v4, -v2
	;; [unrolled: 2-line block ×22, first 2 shown]
	v_add_u32_e32 v4, 1, v9
	v_add_f32_e32 v1, 0x3f4df315, v1
	v_cmp_ge_f32_e64 s[0:1], 0, v11
	v_fma_f32 v5, -v4, v9, v3
	v_sub_f32_e32 v1, v1, v2
	v_cndmask_b32_e64 v2, v9, v10, s[0:1]
	v_cmp_lt_f32_e64 s[0:1], 0, v5
	v_cndmask_b32_e64 v2, v2, v4, s[0:1]
	v_mul_f32_e32 v4, 0x37800000, v2
	v_cndmask_b32_e32 v2, v2, v4, vcc
	v_mov_b32_e32 v4, 0x260
	v_mul_f32_e32 v1, 0.5, v1
	v_cmp_class_f32_e32 vcc, v3, v4
	v_mul_f32_e32 v1, v6, v1
	v_cndmask_b32_e32 v2, v2, v3, vcc
	v_div_scale_f32 v3, s[0:1], v2, v2, v1
	v_div_scale_f32 v4, vcc, v1, v2, v1
	v_rcp_f32_e32 v5, v3
	v_fma_f32 v6, -v3, v5, 1.0
	v_fmac_f32_e32 v5, v6, v5
	v_mul_f32_e32 v6, v4, v5
	v_fma_f32 v7, -v3, v6, v4
	v_fmac_f32_e32 v6, v7, v5
	v_fma_f32 v3, -v3, v6, v4
	v_div_fmas_f32 v3, v3, v5, v6
	v_div_fixup_f32 v2, v3, v2, v1
.LBB16_156:
	s_or_b64 exec, exec, s[2:3]
	global_store_dword v0, v2, s[16:17]
	s_or_b64 exec, exec, s[48:49]
                                        ; implicit-def: $vgpr13
                                        ; implicit-def: $vgpr4
	s_andn2_saveexec_b64 s[0:1], s[38:39]
	s_cbranch_execz .LBB16_125
	s_branch .LBB16_8
	.section	.rodata,"a",@progbits
	.p2align	6, 0x0
	.amdhsa_kernel _ZN2at6native32elementwise_kernel_manual_unrollILi128ELi4EZNS0_22gpu_kernel_impl_nocastIZZZNS0_12_GLOBAL__N_130modified_bessel_i0_kernel_cudaERNS_18TensorIteratorBaseEENKUlvE_clEvENKUlvE0_clEvEUlfE_EEvS5_RKT_EUlibE_EEviT1_
		.amdhsa_group_segment_fixed_size 0
		.amdhsa_private_segment_fixed_size 0
		.amdhsa_kernarg_size 360
		.amdhsa_user_sgpr_count 6
		.amdhsa_user_sgpr_private_segment_buffer 1
		.amdhsa_user_sgpr_dispatch_ptr 0
		.amdhsa_user_sgpr_queue_ptr 0
		.amdhsa_user_sgpr_kernarg_segment_ptr 1
		.amdhsa_user_sgpr_dispatch_id 0
		.amdhsa_user_sgpr_flat_scratch_init 0
		.amdhsa_user_sgpr_private_segment_size 0
		.amdhsa_uses_dynamic_stack 0
		.amdhsa_system_sgpr_private_segment_wavefront_offset 0
		.amdhsa_system_sgpr_workgroup_id_x 1
		.amdhsa_system_sgpr_workgroup_id_y 0
		.amdhsa_system_sgpr_workgroup_id_z 0
		.amdhsa_system_sgpr_workgroup_info 0
		.amdhsa_system_vgpr_workitem_id 0
		.amdhsa_next_free_vgpr 19
		.amdhsa_next_free_sgpr 60
		.amdhsa_reserve_vcc 1
		.amdhsa_reserve_flat_scratch 0
		.amdhsa_float_round_mode_32 0
		.amdhsa_float_round_mode_16_64 0
		.amdhsa_float_denorm_mode_32 3
		.amdhsa_float_denorm_mode_16_64 3
		.amdhsa_dx10_clamp 1
		.amdhsa_ieee_mode 1
		.amdhsa_fp16_overflow 0
		.amdhsa_exception_fp_ieee_invalid_op 0
		.amdhsa_exception_fp_denorm_src 0
		.amdhsa_exception_fp_ieee_div_zero 0
		.amdhsa_exception_fp_ieee_overflow 0
		.amdhsa_exception_fp_ieee_underflow 0
		.amdhsa_exception_fp_ieee_inexact 0
		.amdhsa_exception_int_div_zero 0
	.end_amdhsa_kernel
	.section	.text._ZN2at6native32elementwise_kernel_manual_unrollILi128ELi4EZNS0_22gpu_kernel_impl_nocastIZZZNS0_12_GLOBAL__N_130modified_bessel_i0_kernel_cudaERNS_18TensorIteratorBaseEENKUlvE_clEvENKUlvE0_clEvEUlfE_EEvS5_RKT_EUlibE_EEviT1_,"axG",@progbits,_ZN2at6native32elementwise_kernel_manual_unrollILi128ELi4EZNS0_22gpu_kernel_impl_nocastIZZZNS0_12_GLOBAL__N_130modified_bessel_i0_kernel_cudaERNS_18TensorIteratorBaseEENKUlvE_clEvENKUlvE0_clEvEUlfE_EEvS5_RKT_EUlibE_EEviT1_,comdat
.Lfunc_end16:
	.size	_ZN2at6native32elementwise_kernel_manual_unrollILi128ELi4EZNS0_22gpu_kernel_impl_nocastIZZZNS0_12_GLOBAL__N_130modified_bessel_i0_kernel_cudaERNS_18TensorIteratorBaseEENKUlvE_clEvENKUlvE0_clEvEUlfE_EEvS5_RKT_EUlibE_EEviT1_, .Lfunc_end16-_ZN2at6native32elementwise_kernel_manual_unrollILi128ELi4EZNS0_22gpu_kernel_impl_nocastIZZZNS0_12_GLOBAL__N_130modified_bessel_i0_kernel_cudaERNS_18TensorIteratorBaseEENKUlvE_clEvENKUlvE0_clEvEUlfE_EEvS5_RKT_EUlibE_EEviT1_
                                        ; -- End function
	.set _ZN2at6native32elementwise_kernel_manual_unrollILi128ELi4EZNS0_22gpu_kernel_impl_nocastIZZZNS0_12_GLOBAL__N_130modified_bessel_i0_kernel_cudaERNS_18TensorIteratorBaseEENKUlvE_clEvENKUlvE0_clEvEUlfE_EEvS5_RKT_EUlibE_EEviT1_.num_vgpr, 19
	.set _ZN2at6native32elementwise_kernel_manual_unrollILi128ELi4EZNS0_22gpu_kernel_impl_nocastIZZZNS0_12_GLOBAL__N_130modified_bessel_i0_kernel_cudaERNS_18TensorIteratorBaseEENKUlvE_clEvENKUlvE0_clEvEUlfE_EEvS5_RKT_EUlibE_EEviT1_.num_agpr, 0
	.set _ZN2at6native32elementwise_kernel_manual_unrollILi128ELi4EZNS0_22gpu_kernel_impl_nocastIZZZNS0_12_GLOBAL__N_130modified_bessel_i0_kernel_cudaERNS_18TensorIteratorBaseEENKUlvE_clEvENKUlvE0_clEvEUlfE_EEvS5_RKT_EUlibE_EEviT1_.numbered_sgpr, 60
	.set _ZN2at6native32elementwise_kernel_manual_unrollILi128ELi4EZNS0_22gpu_kernel_impl_nocastIZZZNS0_12_GLOBAL__N_130modified_bessel_i0_kernel_cudaERNS_18TensorIteratorBaseEENKUlvE_clEvENKUlvE0_clEvEUlfE_EEvS5_RKT_EUlibE_EEviT1_.num_named_barrier, 0
	.set _ZN2at6native32elementwise_kernel_manual_unrollILi128ELi4EZNS0_22gpu_kernel_impl_nocastIZZZNS0_12_GLOBAL__N_130modified_bessel_i0_kernel_cudaERNS_18TensorIteratorBaseEENKUlvE_clEvENKUlvE0_clEvEUlfE_EEvS5_RKT_EUlibE_EEviT1_.private_seg_size, 0
	.set _ZN2at6native32elementwise_kernel_manual_unrollILi128ELi4EZNS0_22gpu_kernel_impl_nocastIZZZNS0_12_GLOBAL__N_130modified_bessel_i0_kernel_cudaERNS_18TensorIteratorBaseEENKUlvE_clEvENKUlvE0_clEvEUlfE_EEvS5_RKT_EUlibE_EEviT1_.uses_vcc, 1
	.set _ZN2at6native32elementwise_kernel_manual_unrollILi128ELi4EZNS0_22gpu_kernel_impl_nocastIZZZNS0_12_GLOBAL__N_130modified_bessel_i0_kernel_cudaERNS_18TensorIteratorBaseEENKUlvE_clEvENKUlvE0_clEvEUlfE_EEvS5_RKT_EUlibE_EEviT1_.uses_flat_scratch, 0
	.set _ZN2at6native32elementwise_kernel_manual_unrollILi128ELi4EZNS0_22gpu_kernel_impl_nocastIZZZNS0_12_GLOBAL__N_130modified_bessel_i0_kernel_cudaERNS_18TensorIteratorBaseEENKUlvE_clEvENKUlvE0_clEvEUlfE_EEvS5_RKT_EUlibE_EEviT1_.has_dyn_sized_stack, 0
	.set _ZN2at6native32elementwise_kernel_manual_unrollILi128ELi4EZNS0_22gpu_kernel_impl_nocastIZZZNS0_12_GLOBAL__N_130modified_bessel_i0_kernel_cudaERNS_18TensorIteratorBaseEENKUlvE_clEvENKUlvE0_clEvEUlfE_EEvS5_RKT_EUlibE_EEviT1_.has_recursion, 0
	.set _ZN2at6native32elementwise_kernel_manual_unrollILi128ELi4EZNS0_22gpu_kernel_impl_nocastIZZZNS0_12_GLOBAL__N_130modified_bessel_i0_kernel_cudaERNS_18TensorIteratorBaseEENKUlvE_clEvENKUlvE0_clEvEUlfE_EEvS5_RKT_EUlibE_EEviT1_.has_indirect_call, 0
	.section	.AMDGPU.csdata,"",@progbits
; Kernel info:
; codeLenInByte = 17360
; TotalNumSgprs: 64
; NumVgprs: 19
; ScratchSize: 0
; MemoryBound: 0
; FloatMode: 240
; IeeeMode: 1
; LDSByteSize: 0 bytes/workgroup (compile time only)
; SGPRBlocks: 7
; VGPRBlocks: 4
; NumSGPRsForWavesPerEU: 64
; NumVGPRsForWavesPerEU: 19
; Occupancy: 10
; WaveLimiterHint : 1
; COMPUTE_PGM_RSRC2:SCRATCH_EN: 0
; COMPUTE_PGM_RSRC2:USER_SGPR: 6
; COMPUTE_PGM_RSRC2:TRAP_HANDLER: 0
; COMPUTE_PGM_RSRC2:TGID_X_EN: 1
; COMPUTE_PGM_RSRC2:TGID_Y_EN: 0
; COMPUTE_PGM_RSRC2:TGID_Z_EN: 0
; COMPUTE_PGM_RSRC2:TIDIG_COMP_CNT: 0
	.section	.text._ZN2at6native32elementwise_kernel_manual_unrollILi128ELi4EZNS0_15gpu_kernel_implIZZZNS0_12_GLOBAL__N_130modified_bessel_i0_kernel_cudaERNS_18TensorIteratorBaseEENKUlvE_clEvENKUlvE0_clEvEUlfE_EEvS5_RKT_EUlibE_EEviT1_,"axG",@progbits,_ZN2at6native32elementwise_kernel_manual_unrollILi128ELi4EZNS0_15gpu_kernel_implIZZZNS0_12_GLOBAL__N_130modified_bessel_i0_kernel_cudaERNS_18TensorIteratorBaseEENKUlvE_clEvENKUlvE0_clEvEUlfE_EEvS5_RKT_EUlibE_EEviT1_,comdat
	.globl	_ZN2at6native32elementwise_kernel_manual_unrollILi128ELi4EZNS0_15gpu_kernel_implIZZZNS0_12_GLOBAL__N_130modified_bessel_i0_kernel_cudaERNS_18TensorIteratorBaseEENKUlvE_clEvENKUlvE0_clEvEUlfE_EEvS5_RKT_EUlibE_EEviT1_ ; -- Begin function _ZN2at6native32elementwise_kernel_manual_unrollILi128ELi4EZNS0_15gpu_kernel_implIZZZNS0_12_GLOBAL__N_130modified_bessel_i0_kernel_cudaERNS_18TensorIteratorBaseEENKUlvE_clEvENKUlvE0_clEvEUlfE_EEvS5_RKT_EUlibE_EEviT1_
	.p2align	8
	.type	_ZN2at6native32elementwise_kernel_manual_unrollILi128ELi4EZNS0_15gpu_kernel_implIZZZNS0_12_GLOBAL__N_130modified_bessel_i0_kernel_cudaERNS_18TensorIteratorBaseEENKUlvE_clEvENKUlvE0_clEvEUlfE_EEvS5_RKT_EUlibE_EEviT1_,@function
_ZN2at6native32elementwise_kernel_manual_unrollILi128ELi4EZNS0_15gpu_kernel_implIZZZNS0_12_GLOBAL__N_130modified_bessel_i0_kernel_cudaERNS_18TensorIteratorBaseEENKUlvE_clEvENKUlvE0_clEvEUlfE_EEvS5_RKT_EUlibE_EEviT1_: ; @_ZN2at6native32elementwise_kernel_manual_unrollILi128ELi4EZNS0_15gpu_kernel_implIZZZNS0_12_GLOBAL__N_130modified_bessel_i0_kernel_cudaERNS_18TensorIteratorBaseEENKUlvE_clEvENKUlvE0_clEvEUlfE_EEvS5_RKT_EUlibE_EEviT1_
; %bb.0:
	v_mov_b32_e32 v1, 0
	global_load_ushort v1, v1, s[4:5] offset:33
	s_load_dwordx4 s[8:11], s[4:5], 0x8
	s_load_dwordx2 s[2:3], s[4:5], 0x18
	s_load_dword s38, s[4:5], 0x0
	v_lshl_or_b32 v7, s6, 9, v0
	v_or_b32_e32 v0, 0x180, v7
	s_mov_b64 s[12:13], 0
	s_mov_b64 s[6:7], 0
	s_waitcnt lgkmcnt(0)
	v_cmp_le_i32_e32 vcc, s38, v0
	s_waitcnt vmcnt(0)
	v_readfirstlane_b32 s33, v1
	s_and_b32 s0, 0xffff, s33
	s_lshr_b32 s42, s0, 8
	s_and_saveexec_b64 s[0:1], vcc
	s_xor_b64 s[4:5], exec, s[0:1]
	s_cbranch_execz .LBB17_1043
; %bb.1:
	v_cmp_gt_i32_e32 vcc, s38, v7
	s_mov_b64 s[18:19], -1
	s_mov_b64 s[20:21], 0
	s_mov_b64 s[14:15], 0
	s_and_saveexec_b64 s[16:17], vcc
	s_cbranch_execz .LBB17_256
; %bb.2:
	v_mul_lo_u32 v0, v7, s3
	v_mov_b32_e32 v1, s11
	s_and_b32 s22, 0xffff, s42
	s_cmp_lt_i32 s22, 11
	v_ashrrev_i32_e32 v2, 31, v0
	v_add_co_u32_e32 v0, vcc, s10, v0
	v_addc_co_u32_e32 v1, vcc, v1, v2, vcc
	s_cbranch_scc1 .LBB17_9
; %bb.3:
	s_cmp_gt_i32 s22, 25
	s_cbranch_scc0 .LBB17_22
; %bb.4:
	s_cmp_gt_i32 s22, 28
	s_cbranch_scc0 .LBB17_26
; %bb.5:
	s_cmp_gt_i32 s22, 43
	s_cbranch_scc0 .LBB17_28
; %bb.6:
	s_cmp_gt_i32 s22, 45
	s_cbranch_scc0 .LBB17_30
; %bb.7:
	s_cmp_eq_u32 s22, 46
	s_cbranch_scc0 .LBB17_32
; %bb.8:
	global_load_dword v2, v[0:1], off
	s_mov_b64 s[0:1], -1
	s_waitcnt vmcnt(0)
	v_lshlrev_b32_e32 v2, 16, v2
	s_branch .LBB17_34
.LBB17_9:
                                        ; implicit-def: $vgpr2
	s_mov_b64 s[0:1], 0
	s_cbranch_execnz .LBB17_207
.LBB17_10:
	s_andn2_b64 vcc, exec, s[0:1]
	s_cbranch_vccnz .LBB17_254
.LBB17_11:
	s_mov_b32 s0, 0x41000000
	s_waitcnt vmcnt(0)
	v_cmp_le_f32_e64 s[0:1], |v2|, s0
                                        ; implicit-def: $vgpr0
	s_and_saveexec_b64 s[6:7], s[0:1]
	s_xor_b64 s[0:1], exec, s[6:7]
	s_cbranch_execz .LBB17_13
; %bb.12:
	v_fma_f32 v0, |v2|, 0.5, -2.0
	v_mov_b32_e32 v1, 0x24199b15
	v_fmac_f32_e32 v1, 0xa2a2e5b9, v0
	v_mov_b32_e32 v3, 0x22a2e5b9
	v_fmac_f32_e32 v3, v0, v1
	v_add_f32_e32 v3, 0xa58c275c, v3
	v_fma_f32 v1, v0, v3, -v1
	v_add_f32_e32 v1, 0x26f736c5, v1
	v_fma_f32 v3, v0, v1, -v3
	;; [unrolled: 2-line block ×22, first 2 shown]
	v_add_f32_e32 v3, 0xbcc274f8, v3
	s_mov_b32 s6, 0x3fb8aa3b
	v_fma_f32 v1, v0, v3, -v1
	v_mul_f32_e64 v4, |v2|, s6
	v_add_f32_e32 v1, 0x3d49f456, v1
	v_rndne_f32_e32 v5, v4
	v_fma_f32 v3, v0, v1, -v3
	v_sub_f32_e32 v6, v4, v5
	v_fma_f32 v4, |v2|, s6, -v4
	s_mov_b32 s6, 0x32a5705f
	v_add_f32_e32 v3, 0xbdc25b82, v3
	v_fma_f32 v4, |v2|, s6, v4
	v_fma_f32 v1, v0, v3, -v1
	v_add_f32_e32 v4, v6, v4
	v_add_f32_e32 v1, 0x3e2fbd64, v1
	v_exp_f32_e32 v4, v4
	v_cvt_i32_f32_e32 v5, v5
	v_fma_f32 v3, v0, v1, -v3
	v_add_f32_e32 v3, 0xbe9bff5e, v3
	v_fma_f32 v0, v0, v3, -v1
	s_mov_b32 s6, 0xc2ce8ed0
	v_add_f32_e32 v0, 0x3f2d4275, v0
	v_ldexp_f32 v3, v4, v5
	v_cmp_nlt_f32_e64 vcc, |v2|, s6
	s_mov_b32 s6, 0x42b17218
	v_cndmask_b32_e32 v3, 0, v3, vcc
	v_mov_b32_e32 v4, 0x7f800000
	v_cmp_ngt_f32_e64 vcc, |v2|, s6
	v_sub_f32_e32 v0, v0, v1
	v_cndmask_b32_e32 v2, v4, v3, vcc
	v_mul_f32_e32 v0, 0.5, v0
	v_mul_f32_e32 v0, v2, v0
                                        ; implicit-def: $vgpr2
.LBB17_13:
	s_andn2_saveexec_b64 s[6:7], s[0:1]
	s_cbranch_execz .LBB17_15
; %bb.14:
	v_and_b32_e32 v0, 0x7fffffff, v2
	s_mov_b32 s18, 0x42000000
	v_div_scale_f32 v1, s[0:1], v0, v0, s18
	v_div_scale_f32 v0, vcc, s18, v0, s18
	s_mov_b32 s0, 0x3fb8aa3b
	v_mul_f32_e64 v5, |v2|, s0
	s_mov_b32 s1, 0x32a5705f
	v_rndne_f32_e32 v9, v5
	v_fma_f32 v10, |v2|, s0, -v5
	s_mov_b32 s23, 0xf800000
	s_mov_b32 s24, 0x4f800000
	v_sub_f32_e32 v5, v5, v9
	v_mul_f32_e64 v8, |v2|, s24
	v_mov_b32_e32 v3, 0xa2b236d3
	v_mov_b32_e32 v4, 0x23056dbb
	s_mov_b32 s19, 0xc2ce8ed0
	v_rcp_f32_e32 v6, v1
	s_mov_b32 s22, 0x42b17218
	v_fma_f32 v11, -v1, v6, 1.0
	v_fmac_f32_e32 v6, v11, v6
	v_mul_f32_e32 v11, v0, v6
	v_fma_f32 v12, -v1, v11, v0
	v_fmac_f32_e32 v11, v12, v6
	v_fma_f32 v0, -v1, v11, v0
	v_div_fmas_f32 v0, v0, v6, v11
	v_fma_f32 v6, |v2|, s1, v10
	v_cmp_lt_f32_e64 vcc, |v2|, s23
	v_add_f32_e32 v5, v5, v6
	v_cndmask_b32_e64 v1, |v2|, v8, vcc
	v_cvt_i32_f32_e32 v8, v9
	v_exp_f32_e32 v5, v5
	v_cmp_nlt_f32_e64 s[0:1], |v2|, s19
	v_sqrt_f32_e32 v9, v1
	v_mov_b32_e32 v6, 0x7f800000
	v_ldexp_f32 v5, v5, v8
	v_cndmask_b32_e64 v5, 0, v5, s[0:1]
	v_cmp_ngt_f32_e64 s[0:1], |v2|, s22
	v_add_u32_e32 v10, -1, v9
	v_fma_f32 v11, -v10, v9, v1
	v_cndmask_b32_e64 v5, v6, v5, s[0:1]
	v_div_fixup_f32 v0, v0, |v2|, s18
	v_add_f32_e32 v0, -2.0, v0
	v_fmac_f32_e32 v3, 0xa3056dbb, v0
	v_fmac_f32_e32 v4, v0, v3
	v_add_f32_e32 v2, 0x244df0c1, v4
	v_fma_f32 v3, v0, v2, -v3
	v_add_f32_e32 v3, 0x241f9ee8, v3
	v_fma_f32 v2, v0, v3, -v2
	;; [unrolled: 2-line block ×22, first 2 shown]
	v_add_u32_e32 v3, 1, v9
	v_add_f32_e32 v0, 0x3f4df315, v0
	v_cmp_ge_f32_e64 s[0:1], 0, v11
	v_fma_f32 v4, -v3, v9, v1
	v_sub_f32_e32 v0, v0, v2
	v_cndmask_b32_e64 v2, v9, v10, s[0:1]
	v_cmp_lt_f32_e64 s[0:1], 0, v4
	v_cndmask_b32_e64 v2, v2, v3, s[0:1]
	v_mul_f32_e32 v3, 0x37800000, v2
	v_cndmask_b32_e32 v2, v2, v3, vcc
	v_mov_b32_e32 v3, 0x260
	v_mul_f32_e32 v0, 0.5, v0
	v_cmp_class_f32_e32 vcc, v1, v3
	v_mul_f32_e32 v0, v5, v0
	v_cndmask_b32_e32 v1, v2, v1, vcc
	v_div_scale_f32 v2, s[0:1], v1, v1, v0
	v_div_scale_f32 v3, vcc, v0, v1, v0
	v_rcp_f32_e32 v4, v2
	v_fma_f32 v5, -v2, v4, 1.0
	v_fmac_f32_e32 v4, v5, v4
	v_mul_f32_e32 v5, v3, v4
	v_fma_f32 v6, -v2, v5, v3
	v_fmac_f32_e32 v5, v6, v4
	v_fma_f32 v2, -v2, v5, v3
	v_div_fmas_f32 v2, v2, v4, v5
	v_div_fixup_f32 v0, v2, v1, v0
.LBB17_15:
	s_or_b64 exec, exec, s[6:7]
	v_mul_lo_u32 v1, v7, s2
	v_mov_b32_e32 v3, s9
	s_and_b32 s24, s33, 0xff
	s_cmp_lt_i32 s24, 11
	v_ashrrev_i32_e32 v4, 31, v1
	v_add_co_u32_e32 v2, vcc, s8, v1
	v_addc_co_u32_e32 v3, vcc, v3, v4, vcc
	s_cbranch_scc1 .LBB17_23
; %bb.16:
	s_and_b32 s25, 0xffff, s24
	s_cmp_gt_i32 s25, 25
	s_cbranch_scc0 .LBB17_27
; %bb.17:
	s_cmp_gt_i32 s25, 28
	s_cbranch_scc0 .LBB17_29
; %bb.18:
	;; [unrolled: 3-line block ×4, first 2 shown]
	s_mov_b64 s[18:19], 0
	s_mov_b64 s[0:1], -1
	s_cmp_eq_u32 s25, 46
	s_mov_b64 s[6:7], 0
	s_cbranch_scc0 .LBB17_38
; %bb.21:
	v_bfe_u32 v1, v0, 16, 1
	s_movk_i32 s0, 0x7fff
	v_add3_u32 v1, v0, v1, s0
	v_cmp_o_f32_e32 vcc, v0, v0
	v_mov_b32_e32 v4, 0x7fc0
	v_cndmask_b32_sdwa v1, v4, v1, vcc dst_sel:DWORD dst_unused:UNUSED_PAD src0_sel:DWORD src1_sel:WORD_1
	global_store_dword v[2:3], v1, off
	s_mov_b64 s[6:7], -1
	s_mov_b64 s[0:1], 0
	s_branch .LBB17_38
.LBB17_22:
	s_mov_b64 s[0:1], 0
                                        ; implicit-def: $vgpr2
	s_cbranch_execnz .LBB17_172
	s_branch .LBB17_206
.LBB17_23:
	s_mov_b64 s[0:1], 0
	s_mov_b64 s[6:7], 0
	s_cbranch_execnz .LBB17_107
.LBB17_24:
	s_andn2_b64 vcc, exec, s[6:7]
	s_cbranch_vccnz .LBB17_145
.LBB17_25:
	v_add_u32_e32 v7, 0x80, v7
	s_mov_b64 s[18:19], -1
	s_branch .LBB17_255
.LBB17_26:
	s_mov_b64 s[6:7], -1
	s_mov_b64 s[0:1], 0
                                        ; implicit-def: $vgpr2
	s_branch .LBB17_153
.LBB17_27:
	s_mov_b64 s[18:19], -1
	s_mov_b64 s[0:1], 0
	s_mov_b64 s[6:7], 0
	s_branch .LBB17_65
.LBB17_28:
	s_mov_b64 s[6:7], -1
	s_mov_b64 s[0:1], 0
                                        ; implicit-def: $vgpr2
	s_branch .LBB17_148
.LBB17_29:
	s_mov_b64 s[18:19], -1
	s_mov_b64 s[0:1], 0
	s_mov_b64 s[6:7], 0
	s_branch .LBB17_48
.LBB17_30:
	s_mov_b64 s[6:7], -1
	s_branch .LBB17_33
.LBB17_31:
	s_mov_b64 s[18:19], -1
	s_mov_b64 s[0:1], 0
	s_mov_b64 s[6:7], 0
	s_branch .LBB17_44
.LBB17_32:
	s_mov_b64 s[14:15], -1
.LBB17_33:
	s_mov_b64 s[0:1], 0
                                        ; implicit-def: $vgpr2
.LBB17_34:
	s_and_b64 vcc, exec, s[6:7]
	s_cbranch_vccz .LBB17_147
; %bb.35:
	s_cmp_eq_u32 s22, 44
	s_cbranch_scc0 .LBB17_146
; %bb.36:
	global_load_ubyte v2, v[0:1], off
	s_movk_i32 s6, 0xff
	v_mov_b32_e32 v3, 0x7f800001
	v_mov_b32_e32 v4, 0x400000
	s_mov_b64 s[0:1], -1
	s_mov_b64 s[14:15], 0
	s_waitcnt vmcnt(0)
	v_lshlrev_b32_e32 v5, 23, v2
	v_cmp_ne_u32_e32 vcc, s6, v2
	v_cndmask_b32_e32 v3, v3, v5, vcc
	v_cmp_ne_u32_e32 vcc, 0, v2
	v_cndmask_b32_e32 v2, v4, v3, vcc
	s_branch .LBB17_147
.LBB17_37:
	s_mov_b64 s[18:19], -1
	s_mov_b64 s[0:1], 0
	s_mov_b64 s[6:7], 0
.LBB17_38:
	s_and_b64 vcc, exec, s[18:19]
	s_cbranch_vccz .LBB17_43
; %bb.39:
	s_cmp_eq_u32 s25, 44
	s_mov_b64 s[0:1], -1
	s_cbranch_scc0 .LBB17_43
; %bb.40:
	v_bfe_u32 v1, v0, 23, 8
	s_movk_i32 s0, 0xff
	v_cmp_ne_u32_e32 vcc, s0, v1
	v_mov_b32_e32 v4, 0xff
	s_and_saveexec_b64 s[6:7], vcc
; %bb.41:
	s_mov_b32 s0, 0x3fffff
	v_and_b32_e32 v5, 0x400000, v0
	v_and_or_b32 v1, v0, s0, v1
	v_cmp_ne_u32_e32 vcc, 0, v5
	v_cmp_ne_u32_e64 s[0:1], 0, v1
	s_and_b64 s[0:1], vcc, s[0:1]
	v_lshrrev_b32_e32 v4, 23, v0
	v_cndmask_b32_e64 v1, 0, 1, s[0:1]
	v_add_u32_e32 v4, v4, v1
; %bb.42:
	s_or_b64 exec, exec, s[6:7]
	s_mov_b64 s[6:7], -1
	s_mov_b64 s[0:1], 0
	global_store_byte v[2:3], v4, off
.LBB17_43:
	s_mov_b64 s[18:19], 0
.LBB17_44:
	s_and_b64 vcc, exec, s[18:19]
	s_cbranch_vccz .LBB17_47
; %bb.45:
	s_cmp_eq_u32 s25, 29
	s_mov_b64 s[0:1], -1
	s_cbranch_scc0 .LBB17_47
; %bb.46:
	v_trunc_f32_e32 v1, v0
	v_mul_f32_e32 v4, 0x2f800000, v1
	v_floor_f32_e32 v4, v4
	v_fmac_f32_e32 v1, 0xcf800000, v4
	v_cvt_u32_f32_e32 v5, v4
	v_cvt_u32_f32_e32 v4, v1
	s_mov_b64 s[6:7], -1
	s_mov_b64 s[0:1], 0
	s_mov_b64 s[18:19], 0
	global_store_dwordx2 v[2:3], v[4:5], off
	s_branch .LBB17_48
.LBB17_47:
	s_mov_b64 s[18:19], 0
.LBB17_48:
	s_and_b64 vcc, exec, s[18:19]
	s_cbranch_vccz .LBB17_64
; %bb.49:
	s_cmp_lt_i32 s25, 27
	s_mov_b64 s[6:7], -1
	s_cbranch_scc1 .LBB17_55
; %bb.50:
	v_cvt_u32_f32_e32 v1, v0
	s_cmp_gt_i32 s25, 27
	s_cbranch_scc0 .LBB17_52
; %bb.51:
	s_mov_b64 s[6:7], 0
	global_store_dword v[2:3], v1, off
.LBB17_52:
	s_andn2_b64 vcc, exec, s[6:7]
	s_cbranch_vccnz .LBB17_54
; %bb.53:
	global_store_short v[2:3], v1, off
.LBB17_54:
	s_mov_b64 s[6:7], 0
.LBB17_55:
	s_andn2_b64 vcc, exec, s[6:7]
	s_cbranch_vccnz .LBB17_63
; %bb.56:
	v_and_b32_e32 v1, 0x7fffffff, v0
	s_mov_b32 s6, 0x43800000
	v_cmp_gt_u32_e32 vcc, s6, v1
	v_mov_b32_e32 v4, 0x80
	s_and_saveexec_b64 s[6:7], vcc
	s_cbranch_execz .LBB17_62
; %bb.57:
	s_mov_b32 s18, 0x3bffffff
	v_cmp_lt_u32_e32 vcc, s18, v1
	s_mov_b64 s[18:19], 0
                                        ; implicit-def: $vgpr1
	s_and_saveexec_b64 s[22:23], vcc
	s_xor_b64 s[22:23], exec, s[22:23]
	s_cbranch_execz .LBB17_287
; %bb.58:
	v_bfe_u32 v1, v0, 20, 1
	s_mov_b32 s26, 0x487ffff
	v_add3_u32 v1, v0, v1, s26
	s_mov_b64 s[18:19], exec
	v_lshrrev_b32_e32 v1, 20, v1
	s_andn2_saveexec_b64 s[22:23], s[22:23]
	s_cbranch_execnz .LBB17_288
.LBB17_59:
	s_or_b64 exec, exec, s[22:23]
	v_mov_b32_e32 v4, 0
	s_and_saveexec_b64 s[22:23], s[18:19]
.LBB17_60:
	v_lshrrev_b32_e32 v4, 24, v0
	s_movk_i32 s18, 0x80
	v_and_or_b32 v4, v4, s18, v1
.LBB17_61:
	s_or_b64 exec, exec, s[22:23]
.LBB17_62:
	s_or_b64 exec, exec, s[6:7]
	global_store_byte v[2:3], v4, off
.LBB17_63:
	s_mov_b64 s[6:7], -1
.LBB17_64:
	s_mov_b64 s[18:19], 0
.LBB17_65:
	s_and_b64 vcc, exec, s[18:19]
	s_cbranch_vccz .LBB17_106
; %bb.66:
	s_cmp_gt_i32 s25, 22
	s_mov_b64 s[18:19], -1
	s_cbranch_scc0 .LBB17_98
; %bb.67:
	s_cmp_lt_i32 s25, 24
	s_mov_b64 s[6:7], -1
	s_cbranch_scc1 .LBB17_87
; %bb.68:
	s_cmp_gt_i32 s25, 24
	s_cbranch_scc0 .LBB17_76
; %bb.69:
	v_and_b32_e32 v1, 0x7fffffff, v0
	s_mov_b32 s6, 0x47800000
	v_cmp_gt_u32_e32 vcc, s6, v1
	v_mov_b32_e32 v4, 0x80
	s_and_saveexec_b64 s[6:7], vcc
	s_cbranch_execz .LBB17_75
; %bb.70:
	s_mov_b32 s18, 0x37ffffff
	v_cmp_lt_u32_e32 vcc, s18, v1
	s_mov_b64 s[18:19], 0
                                        ; implicit-def: $vgpr1
	s_and_saveexec_b64 s[22:23], vcc
	s_xor_b64 s[22:23], exec, s[22:23]
	s_cbranch_execz .LBB17_291
; %bb.71:
	v_bfe_u32 v1, v0, 21, 1
	s_mov_b32 s26, 0x88fffff
	v_add3_u32 v1, v0, v1, s26
	s_mov_b64 s[18:19], exec
	v_lshrrev_b32_e32 v1, 21, v1
	s_andn2_saveexec_b64 s[22:23], s[22:23]
	s_cbranch_execnz .LBB17_292
.LBB17_72:
	s_or_b64 exec, exec, s[22:23]
	v_mov_b32_e32 v4, 0
	s_and_saveexec_b64 s[22:23], s[18:19]
.LBB17_73:
	v_lshrrev_b32_e32 v4, 24, v0
	s_movk_i32 s18, 0x80
	v_and_or_b32 v4, v4, s18, v1
.LBB17_74:
	s_or_b64 exec, exec, s[22:23]
.LBB17_75:
	s_or_b64 exec, exec, s[6:7]
	s_mov_b64 s[6:7], 0
	global_store_byte v[2:3], v4, off
.LBB17_76:
	s_and_b64 vcc, exec, s[6:7]
	s_cbranch_vccz .LBB17_86
; %bb.77:
	v_and_b32_e32 v4, 0x7fffffff, v0
	s_mov_b32 s6, 0x43f00000
	v_cmp_gt_u32_e32 vcc, s6, v4
                                        ; implicit-def: $vgpr1
	s_and_saveexec_b64 s[6:7], vcc
	s_xor_b64 s[6:7], exec, s[6:7]
	s_cbranch_execz .LBB17_83
; %bb.78:
	s_mov_b32 s18, 0x3c7fffff
	v_cmp_lt_u32_e32 vcc, s18, v4
                                        ; implicit-def: $vgpr1
	s_and_saveexec_b64 s[18:19], vcc
	s_xor_b64 s[18:19], exec, s[18:19]
; %bb.79:
	v_bfe_u32 v1, v0, 20, 1
	s_mov_b32 s22, 0x407ffff
	v_add3_u32 v1, v0, v1, s22
	v_lshrrev_b32_e32 v4, 20, v1
	v_and_b32_e32 v1, 0xff00000, v1
	s_mov_b32 s22, 0x7f00000
	v_mov_b32_e32 v5, 0x7e
	v_cmp_ne_u32_e32 vcc, s22, v1
	v_cndmask_b32_e32 v1, v5, v4, vcc
; %bb.80:
	s_andn2_saveexec_b64 s[18:19], s[18:19]
; %bb.81:
	s_mov_b32 s22, 0x46800000
	v_add_f32_e64 v1, |v0|, s22
; %bb.82:
	s_or_b64 exec, exec, s[18:19]
                                        ; implicit-def: $vgpr4
.LBB17_83:
	s_andn2_saveexec_b64 s[6:7], s[6:7]
; %bb.84:
	s_mov_b32 s18, 0x7f800000
	v_mov_b32_e32 v1, 0x7e
	v_mov_b32_e32 v5, 0x7f
	v_cmp_lt_u32_e32 vcc, s18, v4
	v_cndmask_b32_e32 v1, v1, v5, vcc
; %bb.85:
	s_or_b64 exec, exec, s[6:7]
	v_lshrrev_b32_e32 v4, 24, v0
	s_movk_i32 s6, 0x80
	v_and_or_b32 v1, v4, s6, v1
	global_store_byte v[2:3], v1, off
.LBB17_86:
	s_mov_b64 s[6:7], 0
.LBB17_87:
	s_andn2_b64 vcc, exec, s[6:7]
	s_cbranch_vccnz .LBB17_97
; %bb.88:
	v_and_b32_e32 v4, 0x7fffffff, v0
	s_mov_b32 s6, 0x47800000
	v_cmp_gt_u32_e32 vcc, s6, v4
                                        ; implicit-def: $vgpr1
	s_and_saveexec_b64 s[6:7], vcc
	s_xor_b64 s[6:7], exec, s[6:7]
	s_cbranch_execz .LBB17_94
; %bb.89:
	s_mov_b32 s18, 0x387fffff
	v_cmp_lt_u32_e32 vcc, s18, v4
                                        ; implicit-def: $vgpr1
	s_and_saveexec_b64 s[18:19], vcc
	s_xor_b64 s[18:19], exec, s[18:19]
; %bb.90:
	v_bfe_u32 v1, v0, 21, 1
	s_mov_b32 s22, 0x80fffff
	v_add3_u32 v1, v0, v1, s22
	v_lshrrev_b32_e32 v1, 21, v1
; %bb.91:
	s_andn2_saveexec_b64 s[18:19], s[18:19]
; %bb.92:
	s_mov_b32 s22, 0x43000000
	v_add_f32_e64 v1, |v0|, s22
; %bb.93:
	s_or_b64 exec, exec, s[18:19]
                                        ; implicit-def: $vgpr4
.LBB17_94:
	s_andn2_saveexec_b64 s[6:7], s[6:7]
; %bb.95:
	s_mov_b32 s18, 0x7f800000
	v_mov_b32_e32 v1, 0x7c
	v_mov_b32_e32 v5, 0x7f
	v_cmp_lt_u32_e32 vcc, s18, v4
	v_cndmask_b32_e32 v1, v1, v5, vcc
; %bb.96:
	s_or_b64 exec, exec, s[6:7]
	v_lshrrev_b32_e32 v4, 24, v0
	s_movk_i32 s6, 0x80
	v_and_or_b32 v1, v4, s6, v1
	global_store_byte v[2:3], v1, off
.LBB17_97:
	s_mov_b64 s[18:19], 0
	s_mov_b64 s[6:7], -1
.LBB17_98:
	s_andn2_b64 vcc, exec, s[18:19]
	s_cbranch_vccnz .LBB17_106
; %bb.99:
	s_cmp_gt_i32 s25, 14
	s_mov_b64 s[18:19], -1
	s_cbranch_scc0 .LBB17_103
; %bb.100:
	s_cmp_eq_u32 s25, 15
	s_mov_b64 s[0:1], -1
	s_cbranch_scc0 .LBB17_102
; %bb.101:
	v_bfe_u32 v1, v0, 16, 1
	s_movk_i32 s0, 0x7fff
	v_add3_u32 v1, v0, v1, s0
	v_cmp_o_f32_e32 vcc, v0, v0
	v_mov_b32_e32 v4, 0x7fc0
	v_cndmask_b32_sdwa v1, v4, v1, vcc dst_sel:DWORD dst_unused:UNUSED_PAD src0_sel:DWORD src1_sel:WORD_1
	global_store_short v[2:3], v1, off
	s_mov_b64 s[6:7], -1
	s_mov_b64 s[0:1], 0
.LBB17_102:
	s_mov_b64 s[18:19], 0
.LBB17_103:
	s_and_b64 vcc, exec, s[18:19]
	s_cbranch_vccz .LBB17_106
; %bb.104:
	s_cmp_eq_u32 s25, 11
	s_mov_b64 s[0:1], -1
	s_cbranch_scc0 .LBB17_106
; %bb.105:
	v_cmp_neq_f32_e32 vcc, 0, v0
	v_cndmask_b32_e64 v1, 0, 1, vcc
	s_mov_b64 s[6:7], -1
	s_mov_b64 s[0:1], 0
	global_store_byte v[2:3], v1, off
.LBB17_106:
	s_branch .LBB17_24
.LBB17_107:
	s_and_b32 s18, 0xffff, s24
	s_cmp_lt_i32 s18, 5
	s_mov_b64 s[6:7], -1
	s_cbranch_scc1 .LBB17_128
; %bb.108:
	s_cmp_lt_i32 s18, 8
	s_cbranch_scc1 .LBB17_118
; %bb.109:
	s_cmp_lt_i32 s18, 9
	s_cbranch_scc1 .LBB17_115
; %bb.110:
	s_cmp_gt_i32 s18, 9
	s_cbranch_scc0 .LBB17_112
; %bb.111:
	v_cvt_f64_f32_e32 v[8:9], v0
	v_mov_b32_e32 v10, 0
	v_mov_b32_e32 v11, v10
	s_mov_b64 s[6:7], 0
	global_store_dwordx4 v[2:3], v[8:11], off
.LBB17_112:
	s_andn2_b64 vcc, exec, s[6:7]
	s_cbranch_vccnz .LBB17_114
; %bb.113:
	v_mov_b32_e32 v1, 0
	global_store_dwordx2 v[2:3], v[0:1], off
.LBB17_114:
	s_mov_b64 s[6:7], 0
.LBB17_115:
	s_andn2_b64 vcc, exec, s[6:7]
	s_cbranch_vccnz .LBB17_117
; %bb.116:
	v_cvt_f16_f32_e32 v1, v0
	global_store_dword v[2:3], v1, off
.LBB17_117:
	s_mov_b64 s[6:7], 0
.LBB17_118:
	s_andn2_b64 vcc, exec, s[6:7]
	s_cbranch_vccnz .LBB17_127
; %bb.119:
	s_cmp_lt_i32 s18, 6
	s_mov_b64 s[6:7], -1
	s_cbranch_scc1 .LBB17_125
; %bb.120:
	s_cmp_gt_i32 s18, 6
	s_cbranch_scc0 .LBB17_122
; %bb.121:
	v_cvt_f64_f32_e32 v[4:5], v0
	s_mov_b64 s[6:7], 0
	global_store_dwordx2 v[2:3], v[4:5], off
.LBB17_122:
	s_andn2_b64 vcc, exec, s[6:7]
	s_cbranch_vccnz .LBB17_124
; %bb.123:
	global_store_dword v[2:3], v0, off
.LBB17_124:
	s_mov_b64 s[6:7], 0
.LBB17_125:
	s_andn2_b64 vcc, exec, s[6:7]
	s_cbranch_vccnz .LBB17_127
; %bb.126:
	v_cvt_f16_f32_e32 v1, v0
	global_store_short v[2:3], v1, off
.LBB17_127:
	s_mov_b64 s[6:7], 0
.LBB17_128:
	s_andn2_b64 vcc, exec, s[6:7]
	s_cbranch_vccnz .LBB17_144
; %bb.129:
	s_cmp_lt_i32 s18, 2
	s_mov_b64 s[6:7], -1
	s_cbranch_scc1 .LBB17_139
; %bb.130:
	s_cmp_lt_i32 s18, 3
	s_cbranch_scc1 .LBB17_136
; %bb.131:
	s_cmp_gt_i32 s18, 3
	s_cbranch_scc0 .LBB17_133
; %bb.132:
	v_trunc_f32_e32 v1, v0
	s_mov_b32 s6, 0x2f800000
	v_mul_f32_e64 v4, |v1|, s6
	v_floor_f32_e32 v4, v4
	s_mov_b32 s6, 0xcf800000
	v_cvt_u32_f32_e32 v5, v4
	v_fma_f32 v4, v4, s6, |v1|
	v_cvt_u32_f32_e32 v4, v4
	v_ashrrev_i32_e32 v1, 31, v1
	v_xor_b32_e32 v5, v5, v1
	s_mov_b64 s[6:7], 0
	v_xor_b32_e32 v4, v4, v1
	v_sub_co_u32_e32 v4, vcc, v4, v1
	v_subb_co_u32_e32 v5, vcc, v5, v1, vcc
	global_store_dwordx2 v[2:3], v[4:5], off
.LBB17_133:
	s_andn2_b64 vcc, exec, s[6:7]
	s_cbranch_vccnz .LBB17_135
; %bb.134:
	v_cvt_i32_f32_e32 v1, v0
	global_store_dword v[2:3], v1, off
.LBB17_135:
	s_mov_b64 s[6:7], 0
.LBB17_136:
	s_andn2_b64 vcc, exec, s[6:7]
	s_cbranch_vccnz .LBB17_138
; %bb.137:
	v_cvt_i32_f32_e32 v1, v0
	global_store_short v[2:3], v1, off
.LBB17_138:
	s_mov_b64 s[6:7], 0
.LBB17_139:
	s_andn2_b64 vcc, exec, s[6:7]
	s_cbranch_vccnz .LBB17_144
; %bb.140:
	s_cmp_gt_i32 s18, 0
	s_mov_b64 s[6:7], -1
	s_cbranch_scc0 .LBB17_142
; %bb.141:
	v_cvt_i32_f32_e32 v1, v0
	s_mov_b64 s[6:7], 0
	global_store_byte v[2:3], v1, off
.LBB17_142:
	s_andn2_b64 vcc, exec, s[6:7]
	s_cbranch_vccnz .LBB17_144
; %bb.143:
	v_trunc_f32_e32 v0, v0
	s_mov_b32 s6, 0x2f800000
	v_mul_f32_e64 v1, |v0|, s6
	v_floor_f32_e32 v1, v1
	s_mov_b32 s6, 0xcf800000
	v_fma_f32 v1, v1, s6, |v0|
	v_cvt_u32_f32_e32 v1, v1
	v_ashrrev_i32_e32 v0, 31, v0
	v_xor_b32_e32 v1, v1, v0
	v_sub_u32_e32 v0, v1, v0
	global_store_byte v[2:3], v0, off
.LBB17_144:
	s_branch .LBB17_25
.LBB17_145:
	s_mov_b64 s[18:19], 0
                                        ; implicit-def: $vgpr7
	s_branch .LBB17_255
.LBB17_146:
	s_mov_b64 s[14:15], -1
                                        ; implicit-def: $vgpr2
.LBB17_147:
	s_mov_b64 s[6:7], 0
.LBB17_148:
	s_and_b64 vcc, exec, s[6:7]
	s_cbranch_vccz .LBB17_152
; %bb.149:
	s_cmp_eq_u32 s22, 29
	s_cbranch_scc0 .LBB17_151
; %bb.150:
	global_load_dwordx2 v[2:3], v[0:1], off
	s_mov_b64 s[0:1], -1
	s_mov_b64 s[14:15], 0
	s_mov_b64 s[6:7], 0
	s_waitcnt vmcnt(0)
	v_ffbh_u32_e32 v4, v3
	v_min_u32_e32 v4, 32, v4
	v_lshlrev_b64 v[2:3], v4, v[2:3]
	v_min_u32_e32 v2, 1, v2
	v_or_b32_e32 v2, v3, v2
	v_cvt_f32_u32_e32 v2, v2
	v_sub_u32_e32 v3, 32, v4
	v_ldexp_f32 v2, v2, v3
	s_branch .LBB17_153
.LBB17_151:
	s_mov_b64 s[14:15], -1
                                        ; implicit-def: $vgpr2
.LBB17_152:
	s_mov_b64 s[6:7], 0
.LBB17_153:
	s_and_b64 vcc, exec, s[6:7]
	s_cbranch_vccz .LBB17_171
; %bb.154:
	s_cmp_lt_i32 s22, 27
	s_cbranch_scc1 .LBB17_157
; %bb.155:
	s_cmp_gt_i32 s22, 27
	s_cbranch_scc0 .LBB17_158
; %bb.156:
	global_load_dword v2, v[0:1], off
	s_mov_b64 s[0:1], 0
	s_waitcnt vmcnt(0)
	v_cvt_f32_u32_e32 v2, v2
	s_branch .LBB17_159
.LBB17_157:
	s_mov_b64 s[0:1], -1
                                        ; implicit-def: $vgpr2
	s_branch .LBB17_162
.LBB17_158:
	s_mov_b64 s[0:1], -1
                                        ; implicit-def: $vgpr2
.LBB17_159:
	s_andn2_b64 vcc, exec, s[0:1]
	s_cbranch_vccnz .LBB17_161
; %bb.160:
	global_load_ushort v2, v[0:1], off
	s_waitcnt vmcnt(0)
	v_cvt_f32_u32_e32 v2, v2
.LBB17_161:
	s_mov_b64 s[0:1], 0
.LBB17_162:
	s_andn2_b64 vcc, exec, s[0:1]
	s_cbranch_vccnz .LBB17_170
; %bb.163:
	global_load_ubyte v3, v[0:1], off
	s_movk_i32 s0, 0x7f
	s_waitcnt vmcnt(0)
	v_cmp_lt_i16_e32 vcc, s0, v3
	s_mov_b64 s[0:1], 0
	s_and_saveexec_b64 s[6:7], vcc
	s_xor_b64 s[6:7], exec, s[6:7]
	s_cbranch_execz .LBB17_183
; %bb.164:
	s_movk_i32 s0, 0x80
	v_cmp_eq_u16_e32 vcc, s0, v3
	s_mov_b64 s[0:1], -1
	s_and_saveexec_b64 s[18:19], vcc
; %bb.165:
	s_xor_b64 s[0:1], exec, -1
; %bb.166:
	s_or_b64 exec, exec, s[18:19]
	s_and_b64 s[0:1], s[0:1], exec
	s_or_saveexec_b64 s[6:7], s[6:7]
	v_mov_b32_e32 v2, 0x7f800001
	s_xor_b64 exec, exec, s[6:7]
	s_cbranch_execnz .LBB17_184
.LBB17_167:
	s_or_b64 exec, exec, s[6:7]
	s_and_saveexec_b64 s[6:7], s[0:1]
	s_cbranch_execz .LBB17_169
.LBB17_168:
	v_lshlrev_b32_e32 v2, 24, v3
	v_and_b32_e32 v3, 0xffff, v3
	v_and_b32_e32 v4, 7, v3
	v_ffbh_u32_e32 v6, v4
	v_min_u32_e32 v6, 32, v6
	v_subrev_u32_e32 v8, 28, v6
	v_bfe_u32 v5, v3, 3, 4
	v_lshlrev_b32_e32 v3, v8, v3
	v_sub_u32_e32 v6, 29, v6
	v_and_b32_e32 v3, 7, v3
	v_cmp_eq_u32_e32 vcc, 0, v5
	v_cndmask_b32_e32 v5, v5, v6, vcc
	v_cndmask_b32_e32 v3, v4, v3, vcc
	v_mov_b32_e32 v4, 0x3b800000
	v_lshlrev_b32_e32 v3, 20, v3
	v_and_b32_e32 v2, 0x80000000, v2
	v_lshl_add_u32 v4, v5, 23, v4
	v_or3_b32 v2, v2, v4, v3
.LBB17_169:
	s_or_b64 exec, exec, s[6:7]
.LBB17_170:
	s_mov_b64 s[0:1], -1
.LBB17_171:
	s_branch .LBB17_206
.LBB17_172:
	s_cmp_gt_i32 s22, 22
	s_cbranch_scc0 .LBB17_182
; %bb.173:
	s_cmp_lt_i32 s22, 24
	s_cbranch_scc1 .LBB17_185
; %bb.174:
	s_cmp_gt_i32 s22, 24
	s_cbranch_scc0 .LBB17_186
; %bb.175:
	global_load_ubyte v3, v[0:1], off
	s_movk_i32 s0, 0x7f
	s_waitcnt vmcnt(0)
	v_cmp_lt_i16_e32 vcc, s0, v3
	s_mov_b64 s[0:1], 0
	s_and_saveexec_b64 s[6:7], vcc
	s_xor_b64 s[6:7], exec, s[6:7]
	s_cbranch_execz .LBB17_198
; %bb.176:
	s_movk_i32 s0, 0x80
	v_cmp_eq_u16_e32 vcc, s0, v3
	s_mov_b64 s[0:1], -1
	s_and_saveexec_b64 s[18:19], vcc
; %bb.177:
	s_xor_b64 s[0:1], exec, -1
; %bb.178:
	s_or_b64 exec, exec, s[18:19]
	s_and_b64 s[0:1], s[0:1], exec
	s_or_saveexec_b64 s[6:7], s[6:7]
	v_mov_b32_e32 v2, 0x7f800001
	s_xor_b64 exec, exec, s[6:7]
	s_cbranch_execnz .LBB17_199
.LBB17_179:
	s_or_b64 exec, exec, s[6:7]
	s_and_saveexec_b64 s[6:7], s[0:1]
	s_cbranch_execz .LBB17_181
.LBB17_180:
	v_lshlrev_b32_e32 v2, 24, v3
	v_and_b32_e32 v3, 0xffff, v3
	v_and_b32_e32 v4, 3, v3
	v_ffbh_u32_e32 v6, v4
	v_min_u32_e32 v6, 32, v6
	v_subrev_u32_e32 v8, 29, v6
	v_bfe_u32 v5, v3, 2, 5
	v_lshlrev_b32_e32 v3, v8, v3
	v_sub_u32_e32 v6, 30, v6
	v_and_b32_e32 v3, 3, v3
	v_cmp_eq_u32_e32 vcc, 0, v5
	v_cndmask_b32_e32 v5, v5, v6, vcc
	v_cndmask_b32_e32 v3, v4, v3, vcc
	v_mov_b32_e32 v4, 0x37800000
	v_lshlrev_b32_e32 v3, 21, v3
	v_and_b32_e32 v2, 0x80000000, v2
	v_lshl_add_u32 v4, v5, 23, v4
	v_or3_b32 v2, v2, v4, v3
.LBB17_181:
	s_or_b64 exec, exec, s[6:7]
	s_mov_b64 s[0:1], 0
	s_branch .LBB17_187
.LBB17_182:
	s_mov_b64 s[6:7], -1
                                        ; implicit-def: $vgpr2
	s_branch .LBB17_193
.LBB17_183:
	s_or_saveexec_b64 s[6:7], s[6:7]
	v_mov_b32_e32 v2, 0x7f800001
	s_xor_b64 exec, exec, s[6:7]
	s_cbranch_execz .LBB17_167
.LBB17_184:
	v_cmp_ne_u16_e32 vcc, 0, v3
	s_andn2_b64 s[0:1], s[0:1], exec
	s_and_b64 s[18:19], vcc, exec
	v_mov_b32_e32 v2, 0
	s_or_b64 s[0:1], s[0:1], s[18:19]
	s_or_b64 exec, exec, s[6:7]
	s_and_saveexec_b64 s[6:7], s[0:1]
	s_cbranch_execnz .LBB17_168
	s_branch .LBB17_169
.LBB17_185:
	s_mov_b64 s[0:1], -1
                                        ; implicit-def: $vgpr2
	s_branch .LBB17_190
.LBB17_186:
	s_mov_b64 s[0:1], -1
                                        ; implicit-def: $vgpr2
.LBB17_187:
	s_and_b64 vcc, exec, s[0:1]
	s_cbranch_vccz .LBB17_189
; %bb.188:
	global_load_ubyte v2, v[0:1], off
	s_mov_b32 s0, 0x7f800000
	s_waitcnt vmcnt(0)
	v_lshlrev_b32_e32 v2, 24, v2
	v_and_b32_e32 v3, 0x7f000000, v2
	v_ffbh_u32_e32 v4, v3
	v_min_u32_e32 v4, 32, v4
	v_sub_u32_e64 v4, v4, 4 clamp
	v_lshlrev_b32_e32 v6, v4, v3
	v_lshlrev_b32_e32 v4, 23, v4
	v_lshrrev_b32_e32 v6, 4, v6
	v_add_u32_e32 v5, 0x1000000, v3
	v_sub_u32_e32 v4, v6, v4
	v_ashrrev_i32_e32 v5, 8, v5
	v_add_u32_e32 v4, 0x3c000000, v4
	v_and_or_b32 v4, v5, s0, v4
	v_cmp_ne_u32_e32 vcc, 0, v3
	v_cndmask_b32_e32 v3, 0, v4, vcc
	s_brev_b32 s0, 1
	v_and_or_b32 v2, v2, s0, v3
.LBB17_189:
	s_mov_b64 s[0:1], 0
.LBB17_190:
	s_andn2_b64 vcc, exec, s[0:1]
	s_cbranch_vccnz .LBB17_192
; %bb.191:
	global_load_ubyte v2, v[0:1], off
	s_movk_i32 s0, 0x7f00
	s_brev_b32 s1, 16
	s_waitcnt vmcnt(0)
	v_lshlrev_b16_e32 v3, 8, v2
	v_lshlrev_b32_e32 v2, 25, v2
	v_lshrrev_b32_e32 v4, 4, v2
	v_and_or_b32 v5, v3, s0, 0.5
	v_or_b32_e32 v4, 0x70000000, v4
	v_add_f32_e32 v5, -0.5, v5
	v_mul_f32_e32 v4, 0x7800000, v4
	v_cmp_gt_u32_e32 vcc, s1, v2
	v_bfe_i32 v3, v3, 0, 16
	v_cndmask_b32_e32 v2, v4, v5, vcc
	s_brev_b32 s0, 1
	v_and_or_b32 v2, v3, s0, v2
.LBB17_192:
	s_mov_b64 s[6:7], 0
	s_mov_b64 s[0:1], -1
.LBB17_193:
	s_andn2_b64 vcc, exec, s[6:7]
	s_cbranch_vccnz .LBB17_206
; %bb.194:
	s_cmp_gt_i32 s22, 14
	s_cbranch_scc0 .LBB17_197
; %bb.195:
	s_cmp_eq_u32 s22, 15
	s_cbranch_scc0 .LBB17_200
; %bb.196:
	global_load_ushort v2, v[0:1], off
	s_mov_b64 s[0:1], -1
	s_mov_b64 s[14:15], 0
	s_waitcnt vmcnt(0)
	v_lshlrev_b32_e32 v2, 16, v2
	s_branch .LBB17_201
.LBB17_197:
	s_mov_b64 s[6:7], -1
                                        ; implicit-def: $vgpr2
	s_branch .LBB17_202
.LBB17_198:
	s_or_saveexec_b64 s[6:7], s[6:7]
	v_mov_b32_e32 v2, 0x7f800001
	s_xor_b64 exec, exec, s[6:7]
	s_cbranch_execz .LBB17_179
.LBB17_199:
	v_cmp_ne_u16_e32 vcc, 0, v3
	s_andn2_b64 s[0:1], s[0:1], exec
	s_and_b64 s[18:19], vcc, exec
	v_mov_b32_e32 v2, 0
	s_or_b64 s[0:1], s[0:1], s[18:19]
	s_or_b64 exec, exec, s[6:7]
	s_and_saveexec_b64 s[6:7], s[0:1]
	s_cbranch_execnz .LBB17_180
	s_branch .LBB17_181
.LBB17_200:
	s_mov_b64 s[14:15], -1
                                        ; implicit-def: $vgpr2
.LBB17_201:
	s_mov_b64 s[6:7], 0
.LBB17_202:
	s_and_b64 vcc, exec, s[6:7]
	s_cbranch_vccz .LBB17_206
; %bb.203:
	s_cmp_eq_u32 s22, 11
	s_cbranch_scc0 .LBB17_205
; %bb.204:
	global_load_ubyte v2, v[0:1], off
	s_mov_b64 s[0:1], -1
	s_mov_b64 s[14:15], 0
	s_waitcnt vmcnt(0)
	v_cmp_ne_u16_e32 vcc, 0, v2
	v_cndmask_b32_e64 v2, 0, 1.0, vcc
	s_branch .LBB17_206
.LBB17_205:
	s_mov_b64 s[14:15], -1
                                        ; implicit-def: $vgpr2
.LBB17_206:
	s_branch .LBB17_10
.LBB17_207:
	s_cmp_lt_i32 s22, 5
	s_cbranch_scc1 .LBB17_212
; %bb.208:
	s_cmp_lt_i32 s22, 8
	s_cbranch_scc1 .LBB17_213
; %bb.209:
	s_cmp_lt_i32 s22, 9
	s_cbranch_scc1 .LBB17_214
; %bb.210:
	s_cmp_gt_i32 s22, 9
	s_cbranch_scc0 .LBB17_215
; %bb.211:
	global_load_dwordx2 v[2:3], v[0:1], off
	s_mov_b64 s[0:1], 0
	s_waitcnt vmcnt(0)
	v_cvt_f32_f64_e32 v2, v[2:3]
	s_branch .LBB17_216
.LBB17_212:
                                        ; implicit-def: $vgpr2
	s_branch .LBB17_234
.LBB17_213:
	s_mov_b64 s[0:1], -1
                                        ; implicit-def: $vgpr2
	s_branch .LBB17_222
.LBB17_214:
	s_mov_b64 s[0:1], -1
                                        ; implicit-def: $vgpr2
	s_branch .LBB17_219
.LBB17_215:
	s_mov_b64 s[0:1], -1
                                        ; implicit-def: $vgpr2
.LBB17_216:
	s_andn2_b64 vcc, exec, s[0:1]
	s_cbranch_vccnz .LBB17_218
; %bb.217:
	global_load_dword v2, v[0:1], off
.LBB17_218:
	s_mov_b64 s[0:1], 0
.LBB17_219:
	s_andn2_b64 vcc, exec, s[0:1]
	s_cbranch_vccnz .LBB17_221
; %bb.220:
	global_load_dword v2, v[0:1], off
	s_waitcnt vmcnt(0)
	v_cvt_f32_f16_e32 v2, v2
.LBB17_221:
	s_mov_b64 s[0:1], 0
.LBB17_222:
	s_andn2_b64 vcc, exec, s[0:1]
	s_cbranch_vccnz .LBB17_233
; %bb.223:
	s_cmp_lt_i32 s22, 6
	s_cbranch_scc1 .LBB17_226
; %bb.224:
	s_cmp_gt_i32 s22, 6
	s_cbranch_scc0 .LBB17_227
; %bb.225:
	global_load_dwordx2 v[2:3], v[0:1], off
	s_mov_b64 s[0:1], 0
	s_waitcnt vmcnt(0)
	v_cvt_f32_f64_e32 v2, v[2:3]
	s_branch .LBB17_228
.LBB17_226:
	s_mov_b64 s[0:1], -1
                                        ; implicit-def: $vgpr2
	s_branch .LBB17_231
.LBB17_227:
	s_mov_b64 s[0:1], -1
                                        ; implicit-def: $vgpr2
.LBB17_228:
	s_andn2_b64 vcc, exec, s[0:1]
	s_cbranch_vccnz .LBB17_230
; %bb.229:
	global_load_dword v2, v[0:1], off
.LBB17_230:
	s_mov_b64 s[0:1], 0
.LBB17_231:
	s_andn2_b64 vcc, exec, s[0:1]
	s_cbranch_vccnz .LBB17_233
; %bb.232:
	global_load_ushort v2, v[0:1], off
	s_waitcnt vmcnt(0)
	v_cvt_f32_f16_e32 v2, v2
.LBB17_233:
	s_cbranch_execnz .LBB17_253
.LBB17_234:
	s_cmp_lt_i32 s22, 2
	s_cbranch_scc1 .LBB17_238
; %bb.235:
	s_cmp_lt_i32 s22, 3
	s_cbranch_scc1 .LBB17_239
; %bb.236:
	s_cmp_gt_i32 s22, 3
	s_cbranch_scc0 .LBB17_240
; %bb.237:
	global_load_dwordx2 v[2:3], v[0:1], off
	s_mov_b64 s[0:1], 0
	s_waitcnt vmcnt(0)
	v_xor_b32_e32 v5, v2, v3
	v_ffbh_i32_e32 v4, v3
	v_ashrrev_i32_e32 v5, 31, v5
	v_add_u32_e32 v4, -1, v4
	v_add_u32_e32 v5, 32, v5
	v_min_u32_e32 v4, v4, v5
	v_lshlrev_b64 v[2:3], v4, v[2:3]
	v_min_u32_e32 v2, 1, v2
	v_or_b32_e32 v2, v3, v2
	v_cvt_f32_i32_e32 v2, v2
	v_sub_u32_e32 v3, 32, v4
	v_ldexp_f32 v2, v2, v3
	s_branch .LBB17_241
.LBB17_238:
	s_mov_b64 s[0:1], -1
                                        ; implicit-def: $vgpr2
	s_branch .LBB17_247
.LBB17_239:
	s_mov_b64 s[0:1], -1
                                        ; implicit-def: $vgpr2
	s_branch .LBB17_244
.LBB17_240:
	s_mov_b64 s[0:1], -1
                                        ; implicit-def: $vgpr2
.LBB17_241:
	s_andn2_b64 vcc, exec, s[0:1]
	s_cbranch_vccnz .LBB17_243
; %bb.242:
	global_load_dword v2, v[0:1], off
	s_waitcnt vmcnt(0)
	v_cvt_f32_i32_e32 v2, v2
.LBB17_243:
	s_mov_b64 s[0:1], 0
.LBB17_244:
	s_andn2_b64 vcc, exec, s[0:1]
	s_cbranch_vccnz .LBB17_246
; %bb.245:
	global_load_sshort v2, v[0:1], off
	s_waitcnt vmcnt(0)
	v_cvt_f32_i32_e32 v2, v2
.LBB17_246:
	s_mov_b64 s[0:1], 0
.LBB17_247:
	s_andn2_b64 vcc, exec, s[0:1]
	s_cbranch_vccnz .LBB17_253
; %bb.248:
	s_cmp_gt_i32 s22, 0
	s_cbranch_scc0 .LBB17_250
; %bb.249:
	global_load_sbyte v2, v[0:1], off
	s_mov_b64 s[0:1], 0
	s_waitcnt vmcnt(0)
	v_cvt_f32_i32_e32 v2, v2
	s_branch .LBB17_251
.LBB17_250:
	s_mov_b64 s[0:1], -1
                                        ; implicit-def: $vgpr2
.LBB17_251:
	s_andn2_b64 vcc, exec, s[0:1]
	s_cbranch_vccnz .LBB17_253
; %bb.252:
	global_load_ubyte v0, v[0:1], off
	s_waitcnt vmcnt(0)
	v_cvt_f32_ubyte0_e32 v2, v0
.LBB17_253:
	s_branch .LBB17_11
.LBB17_254:
	s_mov_b64 s[0:1], 0
                                        ; implicit-def: $vgpr7
	s_mov_b64 s[18:19], 0
.LBB17_255:
	s_and_b64 s[6:7], s[0:1], exec
	s_and_b64 s[14:15], s[14:15], exec
	s_orn2_b64 s[18:19], s[18:19], exec
.LBB17_256:
	s_or_b64 exec, exec, s[16:17]
	s_mov_b64 s[22:23], 0
	s_mov_b64 s[0:1], 0
                                        ; implicit-def: $vgpr0_vgpr1
                                        ; implicit-def: $vgpr4
	s_and_saveexec_b64 s[16:17], s[18:19]
	s_cbranch_execz .LBB17_265
; %bb.257:
	v_cmp_gt_i32_e32 vcc, s38, v7
	s_mov_b64 s[0:1], -1
	s_mov_b64 s[18:19], s[14:15]
	s_mov_b64 s[20:21], s[6:7]
	s_and_saveexec_b64 s[22:23], vcc
	s_cbranch_execz .LBB17_521
; %bb.258:
	v_mul_lo_u32 v0, v7, s3
	v_mov_b32_e32 v1, s11
	s_and_b32 s26, 0xffff, s42
	s_cmp_lt_i32 s26, 11
	s_waitcnt vmcnt(0)
	v_ashrrev_i32_e32 v2, 31, v0
	v_add_co_u32_e32 v0, vcc, s10, v0
	v_addc_co_u32_e32 v1, vcc, v1, v2, vcc
	s_cbranch_scc1 .LBB17_268
; %bb.259:
	s_cmp_gt_i32 s26, 25
	s_cbranch_scc0 .LBB17_281
; %bb.260:
	s_cmp_gt_i32 s26, 28
	s_cbranch_scc0 .LBB17_283
	;; [unrolled: 3-line block ×4, first 2 shown]
; %bb.263:
	s_cmp_eq_u32 s26, 46
	s_mov_b64 s[20:21], 0
	s_cbranch_scc0 .LBB17_293
; %bb.264:
	global_load_dword v2, v[0:1], off
	s_mov_b64 s[18:19], 0
	s_waitcnt vmcnt(0)
	v_lshlrev_b32_e32 v2, 16, v2
	s_branch .LBB17_294
.LBB17_265:
	s_or_b64 exec, exec, s[16:17]
	s_mov_b64 s[16:17], 0
	s_and_saveexec_b64 s[18:19], s[14:15]
	s_cbranch_execnz .LBB17_871
.LBB17_266:
	s_or_b64 exec, exec, s[18:19]
	s_and_saveexec_b64 s[14:15], s[20:21]
	s_xor_b64 s[14:15], exec, s[14:15]
	s_cbranch_execz .LBB17_872
.LBB17_267:
	global_load_ubyte v2, v[0:1], off
	s_or_b64 s[0:1], s[0:1], exec
	s_waitcnt vmcnt(0)
	v_cmp_ne_u16_e32 vcc, 0, v2
	v_cndmask_b32_e64 v4, 0, 1.0, vcc
	s_or_b64 exec, exec, s[14:15]
	s_and_saveexec_b64 s[14:15], s[22:23]
	s_cbranch_execz .LBB17_918
	s_branch .LBB17_873
.LBB17_268:
	s_mov_b64 s[0:1], 0
                                        ; implicit-def: $vgpr2
	s_mov_b64 s[18:19], s[14:15]
	s_cbranch_execnz .LBB17_471
.LBB17_269:
	s_andn2_b64 vcc, exec, s[0:1]
	s_cbranch_vccnz .LBB17_519
.LBB17_270:
	s_mov_b32 s0, 0x41000000
	s_waitcnt vmcnt(0)
	v_cmp_le_f32_e64 s[0:1], |v2|, s0
                                        ; implicit-def: $vgpr0
	s_and_saveexec_b64 s[20:21], s[0:1]
	s_xor_b64 s[0:1], exec, s[20:21]
	s_cbranch_execz .LBB17_272
; %bb.271:
	v_fma_f32 v0, |v2|, 0.5, -2.0
	v_mov_b32_e32 v1, 0x24199b15
	v_fmac_f32_e32 v1, 0xa2a2e5b9, v0
	v_mov_b32_e32 v3, 0x22a2e5b9
	v_fmac_f32_e32 v3, v0, v1
	v_add_f32_e32 v3, 0xa58c275c, v3
	v_fma_f32 v1, v0, v3, -v1
	v_add_f32_e32 v1, 0x26f736c5, v1
	v_fma_f32 v3, v0, v1, -v3
	;; [unrolled: 2-line block ×22, first 2 shown]
	v_add_f32_e32 v3, 0xbcc274f8, v3
	s_mov_b32 s20, 0x3fb8aa3b
	v_fma_f32 v1, v0, v3, -v1
	v_mul_f32_e64 v4, |v2|, s20
	v_add_f32_e32 v1, 0x3d49f456, v1
	v_rndne_f32_e32 v5, v4
	v_fma_f32 v3, v0, v1, -v3
	v_sub_f32_e32 v6, v4, v5
	v_fma_f32 v4, |v2|, s20, -v4
	s_mov_b32 s20, 0x32a5705f
	v_add_f32_e32 v3, 0xbdc25b82, v3
	v_fma_f32 v4, |v2|, s20, v4
	v_fma_f32 v1, v0, v3, -v1
	v_add_f32_e32 v4, v6, v4
	v_add_f32_e32 v1, 0x3e2fbd64, v1
	v_exp_f32_e32 v4, v4
	v_cvt_i32_f32_e32 v5, v5
	v_fma_f32 v3, v0, v1, -v3
	v_add_f32_e32 v3, 0xbe9bff5e, v3
	v_fma_f32 v0, v0, v3, -v1
	s_mov_b32 s20, 0xc2ce8ed0
	v_add_f32_e32 v0, 0x3f2d4275, v0
	v_ldexp_f32 v3, v4, v5
	v_cmp_nlt_f32_e64 vcc, |v2|, s20
	s_mov_b32 s20, 0x42b17218
	v_cndmask_b32_e32 v3, 0, v3, vcc
	v_mov_b32_e32 v4, 0x7f800000
	v_cmp_ngt_f32_e64 vcc, |v2|, s20
	v_sub_f32_e32 v0, v0, v1
	v_cndmask_b32_e32 v2, v4, v3, vcc
	v_mul_f32_e32 v0, 0.5, v0
	v_mul_f32_e32 v0, v2, v0
                                        ; implicit-def: $vgpr2
.LBB17_272:
	s_andn2_saveexec_b64 s[20:21], s[0:1]
	s_cbranch_execz .LBB17_274
; %bb.273:
	v_and_b32_e32 v0, 0x7fffffff, v2
	s_mov_b32 s24, 0x42000000
	v_div_scale_f32 v1, s[0:1], v0, v0, s24
	v_div_scale_f32 v0, vcc, s24, v0, s24
	s_mov_b32 s0, 0x3fb8aa3b
	v_mul_f32_e64 v5, |v2|, s0
	s_mov_b32 s1, 0x32a5705f
	v_rndne_f32_e32 v9, v5
	v_fma_f32 v10, |v2|, s0, -v5
	s_mov_b32 s27, 0xf800000
	s_mov_b32 s28, 0x4f800000
	v_sub_f32_e32 v5, v5, v9
	v_mul_f32_e64 v8, |v2|, s28
	v_mov_b32_e32 v3, 0xa2b236d3
	v_mov_b32_e32 v4, 0x23056dbb
	s_mov_b32 s25, 0xc2ce8ed0
	v_rcp_f32_e32 v6, v1
	s_mov_b32 s26, 0x42b17218
	v_fma_f32 v11, -v1, v6, 1.0
	v_fmac_f32_e32 v6, v11, v6
	v_mul_f32_e32 v11, v0, v6
	v_fma_f32 v12, -v1, v11, v0
	v_fmac_f32_e32 v11, v12, v6
	v_fma_f32 v0, -v1, v11, v0
	v_div_fmas_f32 v0, v0, v6, v11
	v_fma_f32 v6, |v2|, s1, v10
	v_cmp_lt_f32_e64 vcc, |v2|, s27
	v_add_f32_e32 v5, v5, v6
	v_cndmask_b32_e64 v1, |v2|, v8, vcc
	v_cvt_i32_f32_e32 v8, v9
	v_exp_f32_e32 v5, v5
	v_cmp_nlt_f32_e64 s[0:1], |v2|, s25
	v_sqrt_f32_e32 v9, v1
	v_mov_b32_e32 v6, 0x7f800000
	v_ldexp_f32 v5, v5, v8
	v_cndmask_b32_e64 v5, 0, v5, s[0:1]
	v_cmp_ngt_f32_e64 s[0:1], |v2|, s26
	v_add_u32_e32 v10, -1, v9
	v_fma_f32 v11, -v10, v9, v1
	v_cndmask_b32_e64 v5, v6, v5, s[0:1]
	v_div_fixup_f32 v0, v0, |v2|, s24
	v_add_f32_e32 v0, -2.0, v0
	v_fmac_f32_e32 v3, 0xa3056dbb, v0
	v_fmac_f32_e32 v4, v0, v3
	v_add_f32_e32 v2, 0x244df0c1, v4
	v_fma_f32 v3, v0, v2, -v3
	v_add_f32_e32 v3, 0x241f9ee8, v3
	v_fma_f32 v2, v0, v3, -v2
	v_add_f32_e32 v2, 0xa5a3005d, v2
	v_fma_f32 v3, v0, v2, -v3
	v_add_f32_e32 v3, 0xa5c5773f, v3
	v_fma_f32 v2, v0, v3, -v2
	v_add_f32_e32 v2, 0x26ff73ed, v2
	v_fma_f32 v3, v0, v2, -v3
	v_add_f32_e32 v3, 0x2789548d, v3
	v_fma_f32 v2, v0, v3, -v2
	v_add_f32_e32 v2, 0xa82c1ff4, v2
	v_fma_f32 v3, v0, v2, -v3
	v_add_f32_e32 v3, 0xa93aecce, v3
	v_fma_f32 v2, v0, v3, -v2
	v_add_f32_e32 v2, 0x288ab7f8, v2
	v_fma_f32 v3, v0, v2, -v3
	v_add_f32_e32 v3, 0x2ad8e463, v3
	v_fma_f32 v2, v0, v3, -v2
	v_add_f32_e32 v2, 0x2b4a1a40, v2
	v_fma_f32 v3, v0, v2, -v3
	v_add_f32_e32 v3, 0xabfc8218, v3
	v_fma_f32 v2, v0, v3, -v2
	v_add_f32_e32 v2, 0xad687eba, v2
	v_fma_f32 v3, v0, v2, -v3
	v_add_f32_e32 v3, 0xae0a88e8, v3
	v_fma_f32 v2, v0, v3, -v2
	v_add_f32_e32 v2, 0x2d5127f5, v2
	v_fma_f32 v3, v0, v2, -v3
	v_add_f32_e32 v3, 0x3007ce66, v3
	v_fma_f32 v2, v0, v3, -v2
	v_add_f32_e32 v2, 0x31696325, v2
	v_fma_f32 v3, v0, v2, -v3
	v_add_f32_e32 v3, 0x32c2b494, v3
	v_fma_f32 v2, v0, v3, -v2
	v_add_f32_e32 v2, 0x345c003f, v2
	v_fma_f32 v3, v0, v2, -v3
	v_add_f32_e32 v3, 0x3642095e, v3
	v_fma_f32 v2, v0, v3, -v2
	v_add_f32_e32 v2, 0x38907d1c, v2
	v_fma_f32 v3, v0, v2, -v3
	v_add_f32_e32 v3, 0x3b5ccc65, v3
	v_fma_f32 v0, v0, v3, -v2
	v_add_u32_e32 v3, 1, v9
	v_add_f32_e32 v0, 0x3f4df315, v0
	v_cmp_ge_f32_e64 s[0:1], 0, v11
	v_fma_f32 v4, -v3, v9, v1
	v_sub_f32_e32 v0, v0, v2
	v_cndmask_b32_e64 v2, v9, v10, s[0:1]
	v_cmp_lt_f32_e64 s[0:1], 0, v4
	v_cndmask_b32_e64 v2, v2, v3, s[0:1]
	v_mul_f32_e32 v3, 0x37800000, v2
	v_cndmask_b32_e32 v2, v2, v3, vcc
	v_mov_b32_e32 v3, 0x260
	v_mul_f32_e32 v0, 0.5, v0
	v_cmp_class_f32_e32 vcc, v1, v3
	v_mul_f32_e32 v0, v5, v0
	v_cndmask_b32_e32 v1, v2, v1, vcc
	v_div_scale_f32 v2, s[0:1], v1, v1, v0
	v_div_scale_f32 v3, vcc, v0, v1, v0
	v_rcp_f32_e32 v4, v2
	v_fma_f32 v5, -v2, v4, 1.0
	v_fmac_f32_e32 v4, v5, v4
	v_mul_f32_e32 v5, v3, v4
	v_fma_f32 v6, -v2, v5, v3
	v_fmac_f32_e32 v5, v6, v4
	v_fma_f32 v2, -v2, v5, v3
	v_div_fmas_f32 v2, v2, v4, v5
	v_div_fixup_f32 v0, v2, v1, v0
.LBB17_274:
	s_or_b64 exec, exec, s[20:21]
	v_mul_lo_u32 v1, v7, s2
	v_mov_b32_e32 v3, s9
	s_and_b32 s28, s33, 0xff
	s_cmp_lt_i32 s28, 11
	v_ashrrev_i32_e32 v4, 31, v1
	v_add_co_u32_e32 v2, vcc, s8, v1
	v_addc_co_u32_e32 v3, vcc, v3, v4, vcc
	s_cbranch_scc1 .LBB17_282
; %bb.275:
	s_and_b32 s29, 0xffff, s28
	s_cmp_gt_i32 s29, 25
	s_cbranch_scc0 .LBB17_284
; %bb.276:
	s_cmp_gt_i32 s29, 28
	s_cbranch_scc0 .LBB17_286
; %bb.277:
	;; [unrolled: 3-line block ×4, first 2 shown]
	s_mov_b64 s[24:25], 0
	s_mov_b64 s[0:1], -1
	s_cmp_eq_u32 s29, 46
	s_mov_b64 s[20:21], 0
	s_cbranch_scc0 .LBB17_298
; %bb.280:
	v_bfe_u32 v1, v0, 16, 1
	s_movk_i32 s0, 0x7fff
	v_add3_u32 v1, v0, v1, s0
	v_cmp_o_f32_e32 vcc, v0, v0
	v_mov_b32_e32 v4, 0x7fc0
	v_cndmask_b32_sdwa v1, v4, v1, vcc dst_sel:DWORD dst_unused:UNUSED_PAD src0_sel:DWORD src1_sel:WORD_1
	global_store_dword v[2:3], v1, off
	s_mov_b64 s[20:21], -1
	s_mov_b64 s[0:1], 0
	s_branch .LBB17_298
.LBB17_281:
	s_mov_b64 s[20:21], -1
	s_mov_b64 s[0:1], 0
	s_mov_b64 s[18:19], s[14:15]
                                        ; implicit-def: $vgpr2
	s_branch .LBB17_435
.LBB17_282:
	s_mov_b64 s[24:25], -1
	s_mov_b64 s[20:21], 0
	s_mov_b64 s[0:1], s[6:7]
	s_branch .LBB17_367
.LBB17_283:
	s_mov_b64 s[20:21], -1
	s_mov_b64 s[0:1], 0
	s_mov_b64 s[18:19], s[14:15]
                                        ; implicit-def: $vgpr2
	s_branch .LBB17_416
.LBB17_284:
	s_mov_b64 s[24:25], -1
	s_mov_b64 s[20:21], 0
	s_mov_b64 s[0:1], s[6:7]
	s_branch .LBB17_325
.LBB17_285:
	s_mov_b64 s[20:21], -1
	s_mov_b64 s[0:1], 0
	s_mov_b64 s[18:19], s[14:15]
                                        ; implicit-def: $vgpr2
	s_branch .LBB17_411
.LBB17_286:
	s_mov_b64 s[24:25], -1
	s_mov_b64 s[20:21], 0
	s_mov_b64 s[0:1], s[6:7]
	s_branch .LBB17_308
.LBB17_287:
	s_andn2_saveexec_b64 s[22:23], s[22:23]
	s_cbranch_execz .LBB17_59
.LBB17_288:
	s_mov_b32 s26, 0x46000000
	v_add_f32_e64 v1, |v0|, s26
	v_and_b32_e32 v1, 0xff, v1
	v_cmp_ne_u32_e32 vcc, 0, v1
	s_andn2_b64 s[18:19], s[18:19], exec
	s_and_b64 s[26:27], vcc, exec
	s_or_b64 s[18:19], s[18:19], s[26:27]
	s_or_b64 exec, exec, s[22:23]
	v_mov_b32_e32 v4, 0
	s_and_saveexec_b64 s[22:23], s[18:19]
	s_cbranch_execnz .LBB17_60
	s_branch .LBB17_61
.LBB17_289:
	s_mov_b64 s[20:21], -1
	s_mov_b64 s[0:1], 0
	s_mov_b64 s[18:19], s[14:15]
                                        ; implicit-def: $vgpr2
	s_branch .LBB17_294
.LBB17_290:
	s_mov_b64 s[24:25], -1
	s_mov_b64 s[20:21], 0
	s_mov_b64 s[0:1], s[6:7]
	s_branch .LBB17_304
.LBB17_291:
	s_andn2_saveexec_b64 s[22:23], s[22:23]
	s_cbranch_execz .LBB17_72
.LBB17_292:
	s_mov_b32 s26, 0x42800000
	v_add_f32_e64 v1, |v0|, s26
	v_and_b32_e32 v1, 0xff, v1
	v_cmp_ne_u32_e32 vcc, 0, v1
	s_andn2_b64 s[18:19], s[18:19], exec
	s_and_b64 s[26:27], vcc, exec
	s_or_b64 s[18:19], s[18:19], s[26:27]
	s_or_b64 exec, exec, s[22:23]
	v_mov_b32_e32 v4, 0
	s_and_saveexec_b64 s[22:23], s[18:19]
	s_cbranch_execnz .LBB17_73
	s_branch .LBB17_74
.LBB17_293:
	s_mov_b64 s[18:19], -1
                                        ; implicit-def: $vgpr2
	s_mov_b64 s[0:1], 0
.LBB17_294:
	s_and_b64 vcc, exec, s[20:21]
	s_cbranch_vccz .LBB17_410
; %bb.295:
	s_cmp_eq_u32 s26, 44
	s_cbranch_scc0 .LBB17_409
; %bb.296:
	global_load_ubyte v2, v[0:1], off
	s_movk_i32 s18, 0xff
	v_mov_b32_e32 v3, 0x7f800001
	v_mov_b32_e32 v4, 0x400000
	s_mov_b64 s[0:1], -1
	s_waitcnt vmcnt(0)
	v_lshlrev_b32_e32 v5, 23, v2
	v_cmp_ne_u32_e32 vcc, s18, v2
	v_cndmask_b32_e32 v3, v3, v5, vcc
	v_cmp_ne_u32_e32 vcc, 0, v2
	v_cndmask_b32_e32 v2, v4, v3, vcc
	s_mov_b64 s[18:19], 0
	s_branch .LBB17_410
.LBB17_297:
	s_mov_b64 s[24:25], -1
	s_mov_b64 s[20:21], 0
	s_mov_b64 s[0:1], s[6:7]
.LBB17_298:
	s_and_b64 vcc, exec, s[24:25]
	s_cbranch_vccz .LBB17_303
; %bb.299:
	s_cmp_eq_u32 s29, 44
	s_mov_b64 s[0:1], -1
	s_cbranch_scc0 .LBB17_303
; %bb.300:
	v_bfe_u32 v1, v0, 23, 8
	s_movk_i32 s0, 0xff
	v_cmp_ne_u32_e32 vcc, s0, v1
	v_mov_b32_e32 v4, 0xff
	s_and_saveexec_b64 s[20:21], vcc
; %bb.301:
	s_mov_b32 s0, 0x3fffff
	v_and_b32_e32 v5, 0x400000, v0
	v_and_or_b32 v1, v0, s0, v1
	v_cmp_ne_u32_e32 vcc, 0, v5
	v_cmp_ne_u32_e64 s[0:1], 0, v1
	s_and_b64 s[0:1], vcc, s[0:1]
	v_lshrrev_b32_e32 v4, 23, v0
	v_cndmask_b32_e64 v1, 0, 1, s[0:1]
	v_add_u32_e32 v4, v4, v1
; %bb.302:
	s_or_b64 exec, exec, s[20:21]
	s_mov_b64 s[20:21], -1
	s_mov_b64 s[0:1], 0
	global_store_byte v[2:3], v4, off
.LBB17_303:
	s_mov_b64 s[24:25], 0
.LBB17_304:
	s_and_b64 vcc, exec, s[24:25]
	s_cbranch_vccz .LBB17_307
; %bb.305:
	s_cmp_eq_u32 s29, 29
	s_mov_b64 s[0:1], -1
	s_cbranch_scc0 .LBB17_307
; %bb.306:
	v_trunc_f32_e32 v1, v0
	v_mul_f32_e32 v4, 0x2f800000, v1
	v_floor_f32_e32 v4, v4
	v_fmac_f32_e32 v1, 0xcf800000, v4
	v_cvt_u32_f32_e32 v5, v4
	v_cvt_u32_f32_e32 v4, v1
	s_mov_b64 s[20:21], -1
	s_mov_b64 s[0:1], 0
	s_mov_b64 s[24:25], 0
	global_store_dwordx2 v[2:3], v[4:5], off
	s_branch .LBB17_308
.LBB17_307:
	s_mov_b64 s[24:25], 0
.LBB17_308:
	s_and_b64 vcc, exec, s[24:25]
	s_cbranch_vccz .LBB17_324
; %bb.309:
	s_cmp_lt_i32 s29, 27
	s_mov_b64 s[20:21], -1
	s_cbranch_scc1 .LBB17_315
; %bb.310:
	v_cvt_u32_f32_e32 v1, v0
	s_cmp_gt_i32 s29, 27
	s_cbranch_scc0 .LBB17_312
; %bb.311:
	s_mov_b64 s[20:21], 0
	global_store_dword v[2:3], v1, off
.LBB17_312:
	s_andn2_b64 vcc, exec, s[20:21]
	s_cbranch_vccnz .LBB17_314
; %bb.313:
	global_store_short v[2:3], v1, off
.LBB17_314:
	s_mov_b64 s[20:21], 0
.LBB17_315:
	s_andn2_b64 vcc, exec, s[20:21]
	s_cbranch_vccnz .LBB17_323
; %bb.316:
	v_and_b32_e32 v1, 0x7fffffff, v0
	s_mov_b32 s20, 0x43800000
	v_cmp_gt_u32_e32 vcc, s20, v1
	v_mov_b32_e32 v4, 0x80
	s_and_saveexec_b64 s[20:21], vcc
	s_cbranch_execz .LBB17_322
; %bb.317:
	s_mov_b32 s24, 0x3bffffff
	v_cmp_lt_u32_e32 vcc, s24, v1
	s_mov_b64 s[24:25], 0
                                        ; implicit-def: $vgpr1
	s_and_saveexec_b64 s[26:27], vcc
	s_xor_b64 s[26:27], exec, s[26:27]
	s_cbranch_execz .LBB17_534
; %bb.318:
	v_bfe_u32 v1, v0, 20, 1
	s_mov_b32 s30, 0x487ffff
	v_add3_u32 v1, v0, v1, s30
	s_mov_b64 s[24:25], exec
	v_lshrrev_b32_e32 v1, 20, v1
	s_andn2_saveexec_b64 s[26:27], s[26:27]
	s_cbranch_execnz .LBB17_535
.LBB17_319:
	s_or_b64 exec, exec, s[26:27]
	v_mov_b32_e32 v4, 0
	s_and_saveexec_b64 s[26:27], s[24:25]
.LBB17_320:
	v_lshrrev_b32_e32 v4, 24, v0
	s_movk_i32 s24, 0x80
	v_and_or_b32 v4, v4, s24, v1
.LBB17_321:
	s_or_b64 exec, exec, s[26:27]
.LBB17_322:
	s_or_b64 exec, exec, s[20:21]
	global_store_byte v[2:3], v4, off
.LBB17_323:
	s_mov_b64 s[20:21], -1
.LBB17_324:
	s_mov_b64 s[24:25], 0
.LBB17_325:
	s_and_b64 vcc, exec, s[24:25]
	s_cbranch_vccz .LBB17_366
; %bb.326:
	s_cmp_gt_i32 s29, 22
	s_mov_b64 s[24:25], -1
	s_cbranch_scc0 .LBB17_358
; %bb.327:
	s_cmp_lt_i32 s29, 24
	s_mov_b64 s[20:21], -1
	s_cbranch_scc1 .LBB17_347
; %bb.328:
	s_cmp_gt_i32 s29, 24
	s_cbranch_scc0 .LBB17_336
; %bb.329:
	v_and_b32_e32 v1, 0x7fffffff, v0
	s_mov_b32 s20, 0x47800000
	v_cmp_gt_u32_e32 vcc, s20, v1
	v_mov_b32_e32 v4, 0x80
	s_and_saveexec_b64 s[20:21], vcc
	s_cbranch_execz .LBB17_335
; %bb.330:
	s_mov_b32 s24, 0x37ffffff
	v_cmp_lt_u32_e32 vcc, s24, v1
	s_mov_b64 s[24:25], 0
                                        ; implicit-def: $vgpr1
	s_and_saveexec_b64 s[26:27], vcc
	s_xor_b64 s[26:27], exec, s[26:27]
	s_cbranch_execz .LBB17_537
; %bb.331:
	v_bfe_u32 v1, v0, 21, 1
	s_mov_b32 s30, 0x88fffff
	v_add3_u32 v1, v0, v1, s30
	s_mov_b64 s[24:25], exec
	v_lshrrev_b32_e32 v1, 21, v1
	s_andn2_saveexec_b64 s[26:27], s[26:27]
	s_cbranch_execnz .LBB17_538
.LBB17_332:
	s_or_b64 exec, exec, s[26:27]
	v_mov_b32_e32 v4, 0
	s_and_saveexec_b64 s[26:27], s[24:25]
.LBB17_333:
	v_lshrrev_b32_e32 v4, 24, v0
	s_movk_i32 s24, 0x80
	v_and_or_b32 v4, v4, s24, v1
.LBB17_334:
	s_or_b64 exec, exec, s[26:27]
.LBB17_335:
	s_or_b64 exec, exec, s[20:21]
	s_mov_b64 s[20:21], 0
	global_store_byte v[2:3], v4, off
.LBB17_336:
	s_and_b64 vcc, exec, s[20:21]
	s_cbranch_vccz .LBB17_346
; %bb.337:
	v_and_b32_e32 v4, 0x7fffffff, v0
	s_mov_b32 s20, 0x43f00000
	v_cmp_gt_u32_e32 vcc, s20, v4
                                        ; implicit-def: $vgpr1
	s_and_saveexec_b64 s[20:21], vcc
	s_xor_b64 s[20:21], exec, s[20:21]
	s_cbranch_execz .LBB17_343
; %bb.338:
	s_mov_b32 s24, 0x3c7fffff
	v_cmp_lt_u32_e32 vcc, s24, v4
                                        ; implicit-def: $vgpr1
	s_and_saveexec_b64 s[24:25], vcc
	s_xor_b64 s[24:25], exec, s[24:25]
; %bb.339:
	v_bfe_u32 v1, v0, 20, 1
	s_mov_b32 s26, 0x407ffff
	v_add3_u32 v1, v0, v1, s26
	v_lshrrev_b32_e32 v4, 20, v1
	v_and_b32_e32 v1, 0xff00000, v1
	s_mov_b32 s26, 0x7f00000
	v_mov_b32_e32 v5, 0x7e
	v_cmp_ne_u32_e32 vcc, s26, v1
	v_cndmask_b32_e32 v1, v5, v4, vcc
; %bb.340:
	s_andn2_saveexec_b64 s[24:25], s[24:25]
; %bb.341:
	s_mov_b32 s26, 0x46800000
	v_add_f32_e64 v1, |v0|, s26
; %bb.342:
	s_or_b64 exec, exec, s[24:25]
                                        ; implicit-def: $vgpr4
.LBB17_343:
	s_andn2_saveexec_b64 s[20:21], s[20:21]
; %bb.344:
	s_mov_b32 s24, 0x7f800000
	v_mov_b32_e32 v1, 0x7e
	v_mov_b32_e32 v5, 0x7f
	v_cmp_lt_u32_e32 vcc, s24, v4
	v_cndmask_b32_e32 v1, v1, v5, vcc
; %bb.345:
	s_or_b64 exec, exec, s[20:21]
	v_lshrrev_b32_e32 v4, 24, v0
	s_movk_i32 s20, 0x80
	v_and_or_b32 v1, v4, s20, v1
	global_store_byte v[2:3], v1, off
.LBB17_346:
	s_mov_b64 s[20:21], 0
.LBB17_347:
	s_andn2_b64 vcc, exec, s[20:21]
	s_cbranch_vccnz .LBB17_357
; %bb.348:
	v_and_b32_e32 v4, 0x7fffffff, v0
	s_mov_b32 s20, 0x47800000
	v_cmp_gt_u32_e32 vcc, s20, v4
                                        ; implicit-def: $vgpr1
	s_and_saveexec_b64 s[20:21], vcc
	s_xor_b64 s[20:21], exec, s[20:21]
	s_cbranch_execz .LBB17_354
; %bb.349:
	s_mov_b32 s24, 0x387fffff
	v_cmp_lt_u32_e32 vcc, s24, v4
                                        ; implicit-def: $vgpr1
	s_and_saveexec_b64 s[24:25], vcc
	s_xor_b64 s[24:25], exec, s[24:25]
; %bb.350:
	v_bfe_u32 v1, v0, 21, 1
	s_mov_b32 s26, 0x80fffff
	v_add3_u32 v1, v0, v1, s26
	v_lshrrev_b32_e32 v1, 21, v1
; %bb.351:
	s_andn2_saveexec_b64 s[24:25], s[24:25]
; %bb.352:
	s_mov_b32 s26, 0x43000000
	v_add_f32_e64 v1, |v0|, s26
; %bb.353:
	s_or_b64 exec, exec, s[24:25]
                                        ; implicit-def: $vgpr4
.LBB17_354:
	s_andn2_saveexec_b64 s[20:21], s[20:21]
; %bb.355:
	s_mov_b32 s24, 0x7f800000
	v_mov_b32_e32 v1, 0x7c
	v_mov_b32_e32 v5, 0x7f
	v_cmp_lt_u32_e32 vcc, s24, v4
	v_cndmask_b32_e32 v1, v1, v5, vcc
; %bb.356:
	s_or_b64 exec, exec, s[20:21]
	v_lshrrev_b32_e32 v4, 24, v0
	s_movk_i32 s20, 0x80
	v_and_or_b32 v1, v4, s20, v1
	global_store_byte v[2:3], v1, off
.LBB17_357:
	s_mov_b64 s[24:25], 0
	s_mov_b64 s[20:21], -1
.LBB17_358:
	s_andn2_b64 vcc, exec, s[24:25]
	s_cbranch_vccnz .LBB17_366
; %bb.359:
	s_cmp_gt_i32 s29, 14
	s_mov_b64 s[24:25], -1
	s_cbranch_scc0 .LBB17_363
; %bb.360:
	s_cmp_eq_u32 s29, 15
	s_mov_b64 s[0:1], -1
	s_cbranch_scc0 .LBB17_362
; %bb.361:
	v_bfe_u32 v1, v0, 16, 1
	s_movk_i32 s0, 0x7fff
	v_add3_u32 v1, v0, v1, s0
	v_cmp_o_f32_e32 vcc, v0, v0
	v_mov_b32_e32 v4, 0x7fc0
	v_cndmask_b32_sdwa v1, v4, v1, vcc dst_sel:DWORD dst_unused:UNUSED_PAD src0_sel:DWORD src1_sel:WORD_1
	global_store_short v[2:3], v1, off
	s_mov_b64 s[20:21], -1
	s_mov_b64 s[0:1], 0
.LBB17_362:
	s_mov_b64 s[24:25], 0
.LBB17_363:
	s_and_b64 vcc, exec, s[24:25]
	s_cbranch_vccz .LBB17_366
; %bb.364:
	s_cmp_eq_u32 s29, 11
	s_mov_b64 s[0:1], -1
	s_cbranch_scc0 .LBB17_366
; %bb.365:
	v_cmp_neq_f32_e32 vcc, 0, v0
	v_cndmask_b32_e64 v1, 0, 1, vcc
	s_mov_b64 s[20:21], -1
	s_mov_b64 s[0:1], 0
	global_store_byte v[2:3], v1, off
.LBB17_366:
	s_mov_b64 s[24:25], 0
.LBB17_367:
	s_and_b64 vcc, exec, s[24:25]
	s_cbranch_vccz .LBB17_406
; %bb.368:
	s_and_b32 s24, 0xffff, s28
	s_cmp_lt_i32 s24, 5
	s_mov_b64 s[20:21], -1
	s_cbranch_scc1 .LBB17_389
; %bb.369:
	s_cmp_lt_i32 s24, 8
	s_cbranch_scc1 .LBB17_379
; %bb.370:
	s_cmp_lt_i32 s24, 9
	s_cbranch_scc1 .LBB17_376
; %bb.371:
	s_cmp_gt_i32 s24, 9
	s_cbranch_scc0 .LBB17_373
; %bb.372:
	v_cvt_f64_f32_e32 v[8:9], v0
	v_mov_b32_e32 v10, 0
	v_mov_b32_e32 v11, v10
	s_mov_b64 s[20:21], 0
	global_store_dwordx4 v[2:3], v[8:11], off
.LBB17_373:
	s_andn2_b64 vcc, exec, s[20:21]
	s_cbranch_vccnz .LBB17_375
; %bb.374:
	v_mov_b32_e32 v1, 0
	global_store_dwordx2 v[2:3], v[0:1], off
.LBB17_375:
	s_mov_b64 s[20:21], 0
.LBB17_376:
	s_andn2_b64 vcc, exec, s[20:21]
	s_cbranch_vccnz .LBB17_378
; %bb.377:
	v_cvt_f16_f32_e32 v1, v0
	global_store_dword v[2:3], v1, off
.LBB17_378:
	s_mov_b64 s[20:21], 0
.LBB17_379:
	s_andn2_b64 vcc, exec, s[20:21]
	s_cbranch_vccnz .LBB17_388
; %bb.380:
	s_cmp_lt_i32 s24, 6
	s_mov_b64 s[20:21], -1
	s_cbranch_scc1 .LBB17_386
; %bb.381:
	s_cmp_gt_i32 s24, 6
	s_cbranch_scc0 .LBB17_383
; %bb.382:
	v_cvt_f64_f32_e32 v[4:5], v0
	s_mov_b64 s[20:21], 0
	global_store_dwordx2 v[2:3], v[4:5], off
.LBB17_383:
	s_andn2_b64 vcc, exec, s[20:21]
	s_cbranch_vccnz .LBB17_385
; %bb.384:
	global_store_dword v[2:3], v0, off
.LBB17_385:
	s_mov_b64 s[20:21], 0
.LBB17_386:
	s_andn2_b64 vcc, exec, s[20:21]
	s_cbranch_vccnz .LBB17_388
; %bb.387:
	v_cvt_f16_f32_e32 v1, v0
	global_store_short v[2:3], v1, off
.LBB17_388:
	s_mov_b64 s[20:21], 0
.LBB17_389:
	s_andn2_b64 vcc, exec, s[20:21]
	s_cbranch_vccnz .LBB17_405
; %bb.390:
	s_cmp_lt_i32 s24, 2
	s_mov_b64 s[20:21], -1
	s_cbranch_scc1 .LBB17_400
; %bb.391:
	s_cmp_lt_i32 s24, 3
	s_cbranch_scc1 .LBB17_397
; %bb.392:
	s_cmp_gt_i32 s24, 3
	s_cbranch_scc0 .LBB17_394
; %bb.393:
	v_trunc_f32_e32 v1, v0
	s_mov_b32 s20, 0x2f800000
	v_mul_f32_e64 v4, |v1|, s20
	v_floor_f32_e32 v4, v4
	s_mov_b32 s20, 0xcf800000
	v_cvt_u32_f32_e32 v5, v4
	v_fma_f32 v4, v4, s20, |v1|
	v_cvt_u32_f32_e32 v4, v4
	v_ashrrev_i32_e32 v1, 31, v1
	v_xor_b32_e32 v5, v5, v1
	s_mov_b64 s[20:21], 0
	v_xor_b32_e32 v4, v4, v1
	v_sub_co_u32_e32 v4, vcc, v4, v1
	v_subb_co_u32_e32 v5, vcc, v5, v1, vcc
	global_store_dwordx2 v[2:3], v[4:5], off
.LBB17_394:
	s_andn2_b64 vcc, exec, s[20:21]
	s_cbranch_vccnz .LBB17_396
; %bb.395:
	v_cvt_i32_f32_e32 v1, v0
	global_store_dword v[2:3], v1, off
.LBB17_396:
	s_mov_b64 s[20:21], 0
.LBB17_397:
	s_andn2_b64 vcc, exec, s[20:21]
	s_cbranch_vccnz .LBB17_399
; %bb.398:
	v_cvt_i32_f32_e32 v1, v0
	global_store_short v[2:3], v1, off
.LBB17_399:
	s_mov_b64 s[20:21], 0
.LBB17_400:
	s_andn2_b64 vcc, exec, s[20:21]
	s_cbranch_vccnz .LBB17_405
; %bb.401:
	s_cmp_gt_i32 s24, 0
	s_mov_b64 s[20:21], -1
	s_cbranch_scc0 .LBB17_403
; %bb.402:
	v_cvt_i32_f32_e32 v1, v0
	s_mov_b64 s[20:21], 0
	global_store_byte v[2:3], v1, off
.LBB17_403:
	s_andn2_b64 vcc, exec, s[20:21]
	s_cbranch_vccnz .LBB17_405
; %bb.404:
	v_trunc_f32_e32 v0, v0
	s_mov_b32 s20, 0x2f800000
	v_mul_f32_e64 v1, |v0|, s20
	v_floor_f32_e32 v1, v1
	s_mov_b32 s20, 0xcf800000
	v_fma_f32 v1, v1, s20, |v0|
	v_cvt_u32_f32_e32 v1, v1
	v_ashrrev_i32_e32 v0, 31, v0
	v_xor_b32_e32 v1, v1, v0
	v_sub_u32_e32 v0, v1, v0
	global_store_byte v[2:3], v0, off
.LBB17_405:
	s_mov_b64 s[20:21], -1
.LBB17_406:
	s_andn2_b64 vcc, exec, s[20:21]
	s_cbranch_vccnz .LBB17_408
; %bb.407:
	v_add_u32_e32 v7, 0x80, v7
	s_mov_b64 s[24:25], -1
	s_branch .LBB17_520
.LBB17_408:
	s_mov_b64 s[24:25], 0
                                        ; implicit-def: $vgpr7
	s_branch .LBB17_520
.LBB17_409:
	s_mov_b64 s[18:19], -1
                                        ; implicit-def: $vgpr2
.LBB17_410:
	s_mov_b64 s[20:21], 0
.LBB17_411:
	s_and_b64 vcc, exec, s[20:21]
	s_cbranch_vccz .LBB17_415
; %bb.412:
	s_cmp_eq_u32 s26, 29
	s_cbranch_scc0 .LBB17_414
; %bb.413:
	global_load_dwordx2 v[2:3], v[0:1], off
	s_mov_b64 s[0:1], -1
	s_mov_b64 s[18:19], 0
	s_mov_b64 s[20:21], 0
	s_waitcnt vmcnt(0)
	v_ffbh_u32_e32 v4, v3
	v_min_u32_e32 v4, 32, v4
	v_lshlrev_b64 v[2:3], v4, v[2:3]
	v_min_u32_e32 v2, 1, v2
	v_or_b32_e32 v2, v3, v2
	v_cvt_f32_u32_e32 v2, v2
	v_sub_u32_e32 v3, 32, v4
	v_ldexp_f32 v2, v2, v3
	s_branch .LBB17_416
.LBB17_414:
	s_mov_b64 s[18:19], -1
                                        ; implicit-def: $vgpr2
.LBB17_415:
	s_mov_b64 s[20:21], 0
.LBB17_416:
	s_and_b64 vcc, exec, s[20:21]
	s_cbranch_vccz .LBB17_434
; %bb.417:
	s_cmp_lt_i32 s26, 27
	s_cbranch_scc1 .LBB17_420
; %bb.418:
	s_cmp_gt_i32 s26, 27
	s_cbranch_scc0 .LBB17_421
; %bb.419:
	global_load_dword v2, v[0:1], off
	s_mov_b64 s[0:1], 0
	s_waitcnt vmcnt(0)
	v_cvt_f32_u32_e32 v2, v2
	s_branch .LBB17_422
.LBB17_420:
	s_mov_b64 s[0:1], -1
                                        ; implicit-def: $vgpr2
	s_branch .LBB17_425
.LBB17_421:
	s_mov_b64 s[0:1], -1
                                        ; implicit-def: $vgpr2
.LBB17_422:
	s_andn2_b64 vcc, exec, s[0:1]
	s_cbranch_vccnz .LBB17_424
; %bb.423:
	global_load_ushort v2, v[0:1], off
	s_waitcnt vmcnt(0)
	v_cvt_f32_u32_e32 v2, v2
.LBB17_424:
	s_mov_b64 s[0:1], 0
.LBB17_425:
	s_andn2_b64 vcc, exec, s[0:1]
	s_cbranch_vccnz .LBB17_433
; %bb.426:
	global_load_ubyte v3, v[0:1], off
	s_movk_i32 s0, 0x7f
	s_waitcnt vmcnt(0)
	v_cmp_lt_i16_e32 vcc, s0, v3
	s_mov_b64 s[0:1], 0
	s_and_saveexec_b64 s[20:21], vcc
	s_xor_b64 s[20:21], exec, s[20:21]
	s_cbranch_execz .LBB17_447
; %bb.427:
	s_movk_i32 s0, 0x80
	v_cmp_eq_u16_e32 vcc, s0, v3
	s_mov_b64 s[0:1], -1
	s_and_saveexec_b64 s[24:25], vcc
; %bb.428:
	s_xor_b64 s[0:1], exec, -1
; %bb.429:
	s_or_b64 exec, exec, s[24:25]
	s_and_b64 s[0:1], s[0:1], exec
	s_or_saveexec_b64 s[20:21], s[20:21]
	v_mov_b32_e32 v2, 0x7f800001
	s_xor_b64 exec, exec, s[20:21]
	s_cbranch_execnz .LBB17_448
.LBB17_430:
	s_or_b64 exec, exec, s[20:21]
	s_and_saveexec_b64 s[20:21], s[0:1]
	s_cbranch_execz .LBB17_432
.LBB17_431:
	v_lshlrev_b32_e32 v2, 24, v3
	v_and_b32_e32 v3, 0xffff, v3
	v_and_b32_e32 v4, 7, v3
	v_ffbh_u32_e32 v6, v4
	v_min_u32_e32 v6, 32, v6
	v_subrev_u32_e32 v8, 28, v6
	v_bfe_u32 v5, v3, 3, 4
	v_lshlrev_b32_e32 v3, v8, v3
	v_sub_u32_e32 v6, 29, v6
	v_and_b32_e32 v3, 7, v3
	v_cmp_eq_u32_e32 vcc, 0, v5
	v_cndmask_b32_e32 v5, v5, v6, vcc
	v_cndmask_b32_e32 v3, v4, v3, vcc
	v_mov_b32_e32 v4, 0x3b800000
	v_lshlrev_b32_e32 v3, 20, v3
	v_and_b32_e32 v2, 0x80000000, v2
	v_lshl_add_u32 v4, v5, 23, v4
	v_or3_b32 v2, v2, v4, v3
.LBB17_432:
	s_or_b64 exec, exec, s[20:21]
.LBB17_433:
	s_mov_b64 s[0:1], -1
.LBB17_434:
	s_mov_b64 s[20:21], 0
.LBB17_435:
	s_and_b64 vcc, exec, s[20:21]
	s_cbranch_vccz .LBB17_470
; %bb.436:
	s_cmp_gt_i32 s26, 22
	s_cbranch_scc0 .LBB17_446
; %bb.437:
	s_cmp_lt_i32 s26, 24
	s_cbranch_scc1 .LBB17_449
; %bb.438:
	s_cmp_gt_i32 s26, 24
	s_cbranch_scc0 .LBB17_450
; %bb.439:
	global_load_ubyte v3, v[0:1], off
	s_movk_i32 s0, 0x7f
	s_waitcnt vmcnt(0)
	v_cmp_lt_i16_e32 vcc, s0, v3
	s_mov_b64 s[0:1], 0
	s_and_saveexec_b64 s[20:21], vcc
	s_xor_b64 s[20:21], exec, s[20:21]
	s_cbranch_execz .LBB17_462
; %bb.440:
	s_movk_i32 s0, 0x80
	v_cmp_eq_u16_e32 vcc, s0, v3
	s_mov_b64 s[0:1], -1
	s_and_saveexec_b64 s[24:25], vcc
; %bb.441:
	s_xor_b64 s[0:1], exec, -1
; %bb.442:
	s_or_b64 exec, exec, s[24:25]
	s_and_b64 s[0:1], s[0:1], exec
	s_or_saveexec_b64 s[20:21], s[20:21]
	v_mov_b32_e32 v2, 0x7f800001
	s_xor_b64 exec, exec, s[20:21]
	s_cbranch_execnz .LBB17_463
.LBB17_443:
	s_or_b64 exec, exec, s[20:21]
	s_and_saveexec_b64 s[20:21], s[0:1]
	s_cbranch_execz .LBB17_445
.LBB17_444:
	v_lshlrev_b32_e32 v2, 24, v3
	v_and_b32_e32 v3, 0xffff, v3
	v_and_b32_e32 v4, 3, v3
	v_ffbh_u32_e32 v6, v4
	v_min_u32_e32 v6, 32, v6
	v_subrev_u32_e32 v8, 29, v6
	v_bfe_u32 v5, v3, 2, 5
	v_lshlrev_b32_e32 v3, v8, v3
	v_sub_u32_e32 v6, 30, v6
	v_and_b32_e32 v3, 3, v3
	v_cmp_eq_u32_e32 vcc, 0, v5
	v_cndmask_b32_e32 v5, v5, v6, vcc
	v_cndmask_b32_e32 v3, v4, v3, vcc
	v_mov_b32_e32 v4, 0x37800000
	v_lshlrev_b32_e32 v3, 21, v3
	v_and_b32_e32 v2, 0x80000000, v2
	v_lshl_add_u32 v4, v5, 23, v4
	v_or3_b32 v2, v2, v4, v3
.LBB17_445:
	s_or_b64 exec, exec, s[20:21]
	s_mov_b64 s[0:1], 0
	s_branch .LBB17_451
.LBB17_446:
	s_mov_b64 s[20:21], -1
                                        ; implicit-def: $vgpr2
	s_branch .LBB17_457
.LBB17_447:
	s_or_saveexec_b64 s[20:21], s[20:21]
	v_mov_b32_e32 v2, 0x7f800001
	s_xor_b64 exec, exec, s[20:21]
	s_cbranch_execz .LBB17_430
.LBB17_448:
	v_cmp_ne_u16_e32 vcc, 0, v3
	s_andn2_b64 s[0:1], s[0:1], exec
	s_and_b64 s[24:25], vcc, exec
	v_mov_b32_e32 v2, 0
	s_or_b64 s[0:1], s[0:1], s[24:25]
	s_or_b64 exec, exec, s[20:21]
	s_and_saveexec_b64 s[20:21], s[0:1]
	s_cbranch_execnz .LBB17_431
	s_branch .LBB17_432
.LBB17_449:
	s_mov_b64 s[0:1], -1
                                        ; implicit-def: $vgpr2
	s_branch .LBB17_454
.LBB17_450:
	s_mov_b64 s[0:1], -1
                                        ; implicit-def: $vgpr2
.LBB17_451:
	s_and_b64 vcc, exec, s[0:1]
	s_cbranch_vccz .LBB17_453
; %bb.452:
	global_load_ubyte v2, v[0:1], off
	s_mov_b32 s0, 0x7f800000
	s_waitcnt vmcnt(0)
	v_lshlrev_b32_e32 v2, 24, v2
	v_and_b32_e32 v3, 0x7f000000, v2
	v_ffbh_u32_e32 v4, v3
	v_min_u32_e32 v4, 32, v4
	v_sub_u32_e64 v4, v4, 4 clamp
	v_lshlrev_b32_e32 v6, v4, v3
	v_lshlrev_b32_e32 v4, 23, v4
	v_lshrrev_b32_e32 v6, 4, v6
	v_add_u32_e32 v5, 0x1000000, v3
	v_sub_u32_e32 v4, v6, v4
	v_ashrrev_i32_e32 v5, 8, v5
	v_add_u32_e32 v4, 0x3c000000, v4
	v_and_or_b32 v4, v5, s0, v4
	v_cmp_ne_u32_e32 vcc, 0, v3
	v_cndmask_b32_e32 v3, 0, v4, vcc
	s_brev_b32 s0, 1
	v_and_or_b32 v2, v2, s0, v3
.LBB17_453:
	s_mov_b64 s[0:1], 0
.LBB17_454:
	s_andn2_b64 vcc, exec, s[0:1]
	s_cbranch_vccnz .LBB17_456
; %bb.455:
	global_load_ubyte v2, v[0:1], off
	s_movk_i32 s0, 0x7f00
	s_brev_b32 s1, 16
	s_waitcnt vmcnt(0)
	v_lshlrev_b16_e32 v3, 8, v2
	v_lshlrev_b32_e32 v2, 25, v2
	v_lshrrev_b32_e32 v4, 4, v2
	v_and_or_b32 v5, v3, s0, 0.5
	v_or_b32_e32 v4, 0x70000000, v4
	v_add_f32_e32 v5, -0.5, v5
	v_mul_f32_e32 v4, 0x7800000, v4
	v_cmp_gt_u32_e32 vcc, s1, v2
	v_bfe_i32 v3, v3, 0, 16
	v_cndmask_b32_e32 v2, v4, v5, vcc
	s_brev_b32 s0, 1
	v_and_or_b32 v2, v3, s0, v2
.LBB17_456:
	s_mov_b64 s[20:21], 0
	s_mov_b64 s[0:1], -1
.LBB17_457:
	s_andn2_b64 vcc, exec, s[20:21]
	s_cbranch_vccnz .LBB17_470
; %bb.458:
	s_cmp_gt_i32 s26, 14
	s_cbranch_scc0 .LBB17_461
; %bb.459:
	s_cmp_eq_u32 s26, 15
	s_cbranch_scc0 .LBB17_464
; %bb.460:
	global_load_ushort v2, v[0:1], off
	s_mov_b64 s[0:1], -1
	s_mov_b64 s[18:19], 0
	s_waitcnt vmcnt(0)
	v_lshlrev_b32_e32 v2, 16, v2
	s_branch .LBB17_465
.LBB17_461:
	s_mov_b64 s[20:21], -1
                                        ; implicit-def: $vgpr2
	s_branch .LBB17_466
.LBB17_462:
	s_or_saveexec_b64 s[20:21], s[20:21]
	v_mov_b32_e32 v2, 0x7f800001
	s_xor_b64 exec, exec, s[20:21]
	s_cbranch_execz .LBB17_443
.LBB17_463:
	v_cmp_ne_u16_e32 vcc, 0, v3
	s_andn2_b64 s[0:1], s[0:1], exec
	s_and_b64 s[24:25], vcc, exec
	v_mov_b32_e32 v2, 0
	s_or_b64 s[0:1], s[0:1], s[24:25]
	s_or_b64 exec, exec, s[20:21]
	s_and_saveexec_b64 s[20:21], s[0:1]
	s_cbranch_execnz .LBB17_444
	s_branch .LBB17_445
.LBB17_464:
	s_mov_b64 s[18:19], -1
                                        ; implicit-def: $vgpr2
.LBB17_465:
	s_mov_b64 s[20:21], 0
.LBB17_466:
	s_and_b64 vcc, exec, s[20:21]
	s_cbranch_vccz .LBB17_470
; %bb.467:
	s_cmp_eq_u32 s26, 11
	s_cbranch_scc0 .LBB17_469
; %bb.468:
	global_load_ubyte v2, v[0:1], off
	s_mov_b64 s[0:1], -1
	s_mov_b64 s[18:19], 0
	s_waitcnt vmcnt(0)
	v_cmp_ne_u16_e32 vcc, 0, v2
	v_cndmask_b32_e64 v2, 0, 1.0, vcc
	s_branch .LBB17_470
.LBB17_469:
	s_mov_b64 s[18:19], -1
                                        ; implicit-def: $vgpr2
.LBB17_470:
	s_branch .LBB17_269
.LBB17_471:
	s_cmp_lt_i32 s26, 5
	s_cbranch_scc1 .LBB17_476
; %bb.472:
	s_cmp_lt_i32 s26, 8
	s_cbranch_scc1 .LBB17_477
; %bb.473:
	;; [unrolled: 3-line block ×3, first 2 shown]
	s_cmp_gt_i32 s26, 9
	s_cbranch_scc0 .LBB17_479
; %bb.475:
	global_load_dwordx2 v[2:3], v[0:1], off
	s_mov_b64 s[0:1], 0
	s_waitcnt vmcnt(0)
	v_cvt_f32_f64_e32 v2, v[2:3]
	s_branch .LBB17_480
.LBB17_476:
	s_mov_b64 s[0:1], -1
                                        ; implicit-def: $vgpr2
	s_branch .LBB17_498
.LBB17_477:
	s_mov_b64 s[0:1], -1
                                        ; implicit-def: $vgpr2
	s_branch .LBB17_486
.LBB17_478:
	s_mov_b64 s[0:1], -1
                                        ; implicit-def: $vgpr2
	s_branch .LBB17_483
.LBB17_479:
	s_mov_b64 s[0:1], -1
                                        ; implicit-def: $vgpr2
.LBB17_480:
	s_andn2_b64 vcc, exec, s[0:1]
	s_cbranch_vccnz .LBB17_482
; %bb.481:
	global_load_dword v2, v[0:1], off
.LBB17_482:
	s_mov_b64 s[0:1], 0
.LBB17_483:
	s_andn2_b64 vcc, exec, s[0:1]
	s_cbranch_vccnz .LBB17_485
; %bb.484:
	global_load_dword v2, v[0:1], off
	s_waitcnt vmcnt(0)
	v_cvt_f32_f16_e32 v2, v2
.LBB17_485:
	s_mov_b64 s[0:1], 0
.LBB17_486:
	s_andn2_b64 vcc, exec, s[0:1]
	s_cbranch_vccnz .LBB17_497
; %bb.487:
	s_cmp_lt_i32 s26, 6
	s_cbranch_scc1 .LBB17_490
; %bb.488:
	s_cmp_gt_i32 s26, 6
	s_cbranch_scc0 .LBB17_491
; %bb.489:
	global_load_dwordx2 v[2:3], v[0:1], off
	s_mov_b64 s[0:1], 0
	s_waitcnt vmcnt(0)
	v_cvt_f32_f64_e32 v2, v[2:3]
	s_branch .LBB17_492
.LBB17_490:
	s_mov_b64 s[0:1], -1
                                        ; implicit-def: $vgpr2
	s_branch .LBB17_495
.LBB17_491:
	s_mov_b64 s[0:1], -1
                                        ; implicit-def: $vgpr2
.LBB17_492:
	s_andn2_b64 vcc, exec, s[0:1]
	s_cbranch_vccnz .LBB17_494
; %bb.493:
	global_load_dword v2, v[0:1], off
.LBB17_494:
	s_mov_b64 s[0:1], 0
.LBB17_495:
	s_andn2_b64 vcc, exec, s[0:1]
	s_cbranch_vccnz .LBB17_497
; %bb.496:
	global_load_ushort v2, v[0:1], off
	s_waitcnt vmcnt(0)
	v_cvt_f32_f16_e32 v2, v2
.LBB17_497:
	s_mov_b64 s[0:1], 0
.LBB17_498:
	s_andn2_b64 vcc, exec, s[0:1]
	s_cbranch_vccnz .LBB17_518
; %bb.499:
	s_cmp_lt_i32 s26, 2
	s_cbranch_scc1 .LBB17_503
; %bb.500:
	s_cmp_lt_i32 s26, 3
	s_cbranch_scc1 .LBB17_504
; %bb.501:
	s_cmp_gt_i32 s26, 3
	s_cbranch_scc0 .LBB17_505
; %bb.502:
	global_load_dwordx2 v[2:3], v[0:1], off
	s_mov_b64 s[0:1], 0
	s_waitcnt vmcnt(0)
	v_xor_b32_e32 v5, v2, v3
	v_ffbh_i32_e32 v4, v3
	v_ashrrev_i32_e32 v5, 31, v5
	v_add_u32_e32 v4, -1, v4
	v_add_u32_e32 v5, 32, v5
	v_min_u32_e32 v4, v4, v5
	v_lshlrev_b64 v[2:3], v4, v[2:3]
	v_min_u32_e32 v2, 1, v2
	v_or_b32_e32 v2, v3, v2
	v_cvt_f32_i32_e32 v2, v2
	v_sub_u32_e32 v3, 32, v4
	v_ldexp_f32 v2, v2, v3
	s_branch .LBB17_506
.LBB17_503:
	s_mov_b64 s[0:1], -1
                                        ; implicit-def: $vgpr2
	s_branch .LBB17_512
.LBB17_504:
	s_mov_b64 s[0:1], -1
                                        ; implicit-def: $vgpr2
	s_branch .LBB17_509
.LBB17_505:
	s_mov_b64 s[0:1], -1
                                        ; implicit-def: $vgpr2
.LBB17_506:
	s_andn2_b64 vcc, exec, s[0:1]
	s_cbranch_vccnz .LBB17_508
; %bb.507:
	global_load_dword v2, v[0:1], off
	s_waitcnt vmcnt(0)
	v_cvt_f32_i32_e32 v2, v2
.LBB17_508:
	s_mov_b64 s[0:1], 0
.LBB17_509:
	s_andn2_b64 vcc, exec, s[0:1]
	s_cbranch_vccnz .LBB17_511
; %bb.510:
	global_load_sshort v2, v[0:1], off
	s_waitcnt vmcnt(0)
	v_cvt_f32_i32_e32 v2, v2
.LBB17_511:
	s_mov_b64 s[0:1], 0
.LBB17_512:
	s_andn2_b64 vcc, exec, s[0:1]
	s_cbranch_vccnz .LBB17_518
; %bb.513:
	s_cmp_gt_i32 s26, 0
	s_cbranch_scc0 .LBB17_515
; %bb.514:
	global_load_sbyte v2, v[0:1], off
	s_mov_b64 s[0:1], 0
	s_waitcnt vmcnt(0)
	v_cvt_f32_i32_e32 v2, v2
	s_branch .LBB17_516
.LBB17_515:
	s_mov_b64 s[0:1], -1
                                        ; implicit-def: $vgpr2
.LBB17_516:
	s_andn2_b64 vcc, exec, s[0:1]
	s_cbranch_vccnz .LBB17_518
; %bb.517:
	global_load_ubyte v0, v[0:1], off
	s_waitcnt vmcnt(0)
	v_cvt_f32_ubyte0_e32 v2, v0
.LBB17_518:
	s_branch .LBB17_270
.LBB17_519:
	s_mov_b64 s[24:25], 0
                                        ; implicit-def: $vgpr7
	s_mov_b64 s[0:1], s[6:7]
.LBB17_520:
	s_andn2_b64 s[20:21], s[6:7], exec
	s_and_b64 s[0:1], s[0:1], exec
	s_or_b64 s[20:21], s[20:21], s[0:1]
	s_andn2_b64 s[0:1], s[14:15], exec
	s_and_b64 s[18:19], s[18:19], exec
	s_or_b64 s[18:19], s[0:1], s[18:19]
	s_orn2_b64 s[0:1], s[24:25], exec
.LBB17_521:
	s_or_b64 exec, exec, s[22:23]
	s_mov_b64 s[24:25], 0
	s_mov_b64 s[26:27], 0
	;; [unrolled: 1-line block ×3, first 2 shown]
                                        ; implicit-def: $vgpr0_vgpr1
                                        ; implicit-def: $vgpr4
	s_and_saveexec_b64 s[22:23], s[0:1]
	s_cbranch_execz .LBB17_870
; %bb.522:
	v_cmp_gt_i32_e32 vcc, s38, v7
	s_mov_b64 s[34:35], -1
	s_mov_b64 s[0:1], s[18:19]
	s_mov_b64 s[28:29], s[20:21]
	s_and_saveexec_b64 s[24:25], vcc
	s_cbranch_execz .LBB17_784
; %bb.523:
	v_mul_lo_u32 v0, v7, s3
	v_mov_b32_e32 v1, s11
	s_and_b32 s34, 0xffff, s42
	s_cmp_lt_i32 s34, 11
	s_waitcnt vmcnt(0)
	v_ashrrev_i32_e32 v2, 31, v0
	v_add_co_u32_e32 v0, vcc, s10, v0
	v_addc_co_u32_e32 v1, vcc, v1, v2, vcc
	s_cbranch_scc1 .LBB17_530
; %bb.524:
	s_cmp_gt_i32 s34, 25
	s_cbranch_scc0 .LBB17_531
; %bb.525:
	s_cmp_gt_i32 s34, 28
	s_cbranch_scc0 .LBB17_532
	;; [unrolled: 3-line block ×4, first 2 shown]
; %bb.528:
	s_cmp_eq_u32 s34, 46
	s_mov_b64 s[28:29], 0
	s_cbranch_scc0 .LBB17_539
; %bb.529:
	global_load_dword v2, v[0:1], off
	s_mov_b64 s[0:1], -1
	s_waitcnt vmcnt(0)
	v_lshlrev_b32_e32 v2, 16, v2
	s_branch .LBB17_540
.LBB17_530:
	s_mov_b64 s[28:29], -1
	s_mov_b64 s[0:1], 0
                                        ; implicit-def: $vgpr2
	s_mov_b64 s[26:27], s[18:19]
	s_branch .LBB17_605
.LBB17_531:
	s_mov_b64 s[28:29], -1
	s_mov_b64 s[0:1], 0
	s_mov_b64 s[26:27], s[18:19]
                                        ; implicit-def: $vgpr2
	s_branch .LBB17_569
.LBB17_532:
	s_mov_b64 s[28:29], -1
	s_mov_b64 s[0:1], 0
	s_mov_b64 s[26:27], s[18:19]
                                        ; implicit-def: $vgpr2
	s_branch .LBB17_550
.LBB17_533:
	s_mov_b64 s[28:29], -1
	s_mov_b64 s[0:1], 0
	s_mov_b64 s[26:27], s[18:19]
                                        ; implicit-def: $vgpr2
	s_branch .LBB17_545
.LBB17_534:
	s_andn2_saveexec_b64 s[26:27], s[26:27]
	s_cbranch_execz .LBB17_319
.LBB17_535:
	s_mov_b32 s30, 0x46000000
	v_add_f32_e64 v1, |v0|, s30
	v_and_b32_e32 v1, 0xff, v1
	v_cmp_ne_u32_e32 vcc, 0, v1
	s_andn2_b64 s[24:25], s[24:25], exec
	s_and_b64 s[30:31], vcc, exec
	s_or_b64 s[24:25], s[24:25], s[30:31]
	s_or_b64 exec, exec, s[26:27]
	v_mov_b32_e32 v4, 0
	s_and_saveexec_b64 s[26:27], s[24:25]
	s_cbranch_execnz .LBB17_320
	s_branch .LBB17_321
.LBB17_536:
	s_mov_b64 s[28:29], -1
	s_mov_b64 s[0:1], 0
	s_mov_b64 s[26:27], s[18:19]
                                        ; implicit-def: $vgpr2
	s_branch .LBB17_540
.LBB17_537:
	s_andn2_saveexec_b64 s[26:27], s[26:27]
	s_cbranch_execz .LBB17_332
.LBB17_538:
	s_mov_b32 s30, 0x42800000
	v_add_f32_e64 v1, |v0|, s30
	v_and_b32_e32 v1, 0xff, v1
	v_cmp_ne_u32_e32 vcc, 0, v1
	s_andn2_b64 s[24:25], s[24:25], exec
	s_and_b64 s[30:31], vcc, exec
	s_or_b64 s[24:25], s[24:25], s[30:31]
	s_or_b64 exec, exec, s[26:27]
	v_mov_b32_e32 v4, 0
	s_and_saveexec_b64 s[26:27], s[24:25]
	s_cbranch_execnz .LBB17_333
	s_branch .LBB17_334
.LBB17_539:
	s_mov_b64 s[26:27], -1
                                        ; implicit-def: $vgpr2
	s_mov_b64 s[0:1], 0
.LBB17_540:
	s_and_b64 vcc, exec, s[28:29]
	s_cbranch_vccz .LBB17_544
; %bb.541:
	s_cmp_eq_u32 s34, 44
	s_cbranch_scc0 .LBB17_543
; %bb.542:
	global_load_ubyte v2, v[0:1], off
	s_movk_i32 s26, 0xff
	v_mov_b32_e32 v3, 0x7f800001
	v_mov_b32_e32 v4, 0x400000
	s_mov_b64 s[0:1], -1
	s_waitcnt vmcnt(0)
	v_lshlrev_b32_e32 v5, 23, v2
	v_cmp_ne_u32_e32 vcc, s26, v2
	v_cndmask_b32_e32 v3, v3, v5, vcc
	v_cmp_ne_u32_e32 vcc, 0, v2
	v_cndmask_b32_e32 v2, v4, v3, vcc
	s_mov_b64 s[26:27], 0
	s_branch .LBB17_544
.LBB17_543:
	s_mov_b64 s[26:27], -1
                                        ; implicit-def: $vgpr2
.LBB17_544:
	s_mov_b64 s[28:29], 0
.LBB17_545:
	s_and_b64 vcc, exec, s[28:29]
	s_cbranch_vccz .LBB17_549
; %bb.546:
	s_cmp_eq_u32 s34, 29
	s_cbranch_scc0 .LBB17_548
; %bb.547:
	global_load_dwordx2 v[2:3], v[0:1], off
	s_mov_b64 s[0:1], -1
	s_mov_b64 s[26:27], 0
	s_mov_b64 s[28:29], 0
	s_waitcnt vmcnt(0)
	v_ffbh_u32_e32 v4, v3
	v_min_u32_e32 v4, 32, v4
	v_lshlrev_b64 v[2:3], v4, v[2:3]
	v_min_u32_e32 v2, 1, v2
	v_or_b32_e32 v2, v3, v2
	v_cvt_f32_u32_e32 v2, v2
	v_sub_u32_e32 v3, 32, v4
	v_ldexp_f32 v2, v2, v3
	s_branch .LBB17_550
.LBB17_548:
	s_mov_b64 s[26:27], -1
                                        ; implicit-def: $vgpr2
.LBB17_549:
	s_mov_b64 s[28:29], 0
.LBB17_550:
	s_and_b64 vcc, exec, s[28:29]
	s_cbranch_vccz .LBB17_568
; %bb.551:
	s_cmp_lt_i32 s34, 27
	s_cbranch_scc1 .LBB17_554
; %bb.552:
	s_cmp_gt_i32 s34, 27
	s_cbranch_scc0 .LBB17_555
; %bb.553:
	global_load_dword v2, v[0:1], off
	s_mov_b64 s[0:1], 0
	s_waitcnt vmcnt(0)
	v_cvt_f32_u32_e32 v2, v2
	s_branch .LBB17_556
.LBB17_554:
	s_mov_b64 s[0:1], -1
                                        ; implicit-def: $vgpr2
	s_branch .LBB17_559
.LBB17_555:
	s_mov_b64 s[0:1], -1
                                        ; implicit-def: $vgpr2
.LBB17_556:
	s_andn2_b64 vcc, exec, s[0:1]
	s_cbranch_vccnz .LBB17_558
; %bb.557:
	global_load_ushort v2, v[0:1], off
	s_waitcnt vmcnt(0)
	v_cvt_f32_u32_e32 v2, v2
.LBB17_558:
	s_mov_b64 s[0:1], 0
.LBB17_559:
	s_andn2_b64 vcc, exec, s[0:1]
	s_cbranch_vccnz .LBB17_567
; %bb.560:
	global_load_ubyte v3, v[0:1], off
	s_movk_i32 s0, 0x7f
	s_waitcnt vmcnt(0)
	v_cmp_lt_i16_e32 vcc, s0, v3
	s_mov_b64 s[0:1], 0
	s_and_saveexec_b64 s[28:29], vcc
	s_xor_b64 s[28:29], exec, s[28:29]
	s_cbranch_execz .LBB17_581
; %bb.561:
	s_movk_i32 s0, 0x80
	v_cmp_eq_u16_e32 vcc, s0, v3
	s_mov_b64 s[0:1], -1
	s_and_saveexec_b64 s[30:31], vcc
; %bb.562:
	s_xor_b64 s[0:1], exec, -1
; %bb.563:
	s_or_b64 exec, exec, s[30:31]
	s_and_b64 s[0:1], s[0:1], exec
	s_or_saveexec_b64 s[28:29], s[28:29]
	v_mov_b32_e32 v2, 0x7f800001
	s_xor_b64 exec, exec, s[28:29]
	s_cbranch_execnz .LBB17_582
.LBB17_564:
	s_or_b64 exec, exec, s[28:29]
	s_and_saveexec_b64 s[28:29], s[0:1]
	s_cbranch_execz .LBB17_566
.LBB17_565:
	v_lshlrev_b32_e32 v2, 24, v3
	v_and_b32_e32 v3, 0xffff, v3
	v_and_b32_e32 v4, 7, v3
	v_ffbh_u32_e32 v6, v4
	v_min_u32_e32 v6, 32, v6
	v_subrev_u32_e32 v8, 28, v6
	v_bfe_u32 v5, v3, 3, 4
	v_lshlrev_b32_e32 v3, v8, v3
	v_sub_u32_e32 v6, 29, v6
	v_and_b32_e32 v3, 7, v3
	v_cmp_eq_u32_e32 vcc, 0, v5
	v_cndmask_b32_e32 v5, v5, v6, vcc
	v_cndmask_b32_e32 v3, v4, v3, vcc
	v_mov_b32_e32 v4, 0x3b800000
	v_lshlrev_b32_e32 v3, 20, v3
	v_and_b32_e32 v2, 0x80000000, v2
	v_lshl_add_u32 v4, v5, 23, v4
	v_or3_b32 v2, v2, v4, v3
.LBB17_566:
	s_or_b64 exec, exec, s[28:29]
.LBB17_567:
	s_mov_b64 s[0:1], -1
.LBB17_568:
	s_mov_b64 s[28:29], 0
.LBB17_569:
	s_and_b64 vcc, exec, s[28:29]
	s_cbranch_vccz .LBB17_604
; %bb.570:
	s_cmp_gt_i32 s34, 22
	s_cbranch_scc0 .LBB17_580
; %bb.571:
	s_cmp_lt_i32 s34, 24
	s_cbranch_scc1 .LBB17_583
; %bb.572:
	s_cmp_gt_i32 s34, 24
	s_cbranch_scc0 .LBB17_584
; %bb.573:
	global_load_ubyte v3, v[0:1], off
	s_movk_i32 s0, 0x7f
	s_waitcnt vmcnt(0)
	v_cmp_lt_i16_e32 vcc, s0, v3
	s_mov_b64 s[0:1], 0
	s_and_saveexec_b64 s[28:29], vcc
	s_xor_b64 s[28:29], exec, s[28:29]
	s_cbranch_execz .LBB17_596
; %bb.574:
	s_movk_i32 s0, 0x80
	v_cmp_eq_u16_e32 vcc, s0, v3
	s_mov_b64 s[0:1], -1
	s_and_saveexec_b64 s[30:31], vcc
; %bb.575:
	s_xor_b64 s[0:1], exec, -1
; %bb.576:
	s_or_b64 exec, exec, s[30:31]
	s_and_b64 s[0:1], s[0:1], exec
	s_or_saveexec_b64 s[28:29], s[28:29]
	v_mov_b32_e32 v2, 0x7f800001
	s_xor_b64 exec, exec, s[28:29]
	s_cbranch_execnz .LBB17_597
.LBB17_577:
	s_or_b64 exec, exec, s[28:29]
	s_and_saveexec_b64 s[28:29], s[0:1]
	s_cbranch_execz .LBB17_579
.LBB17_578:
	v_lshlrev_b32_e32 v2, 24, v3
	v_and_b32_e32 v3, 0xffff, v3
	v_and_b32_e32 v4, 3, v3
	v_ffbh_u32_e32 v6, v4
	v_min_u32_e32 v6, 32, v6
	v_subrev_u32_e32 v8, 29, v6
	v_bfe_u32 v5, v3, 2, 5
	v_lshlrev_b32_e32 v3, v8, v3
	v_sub_u32_e32 v6, 30, v6
	v_and_b32_e32 v3, 3, v3
	v_cmp_eq_u32_e32 vcc, 0, v5
	v_cndmask_b32_e32 v5, v5, v6, vcc
	v_cndmask_b32_e32 v3, v4, v3, vcc
	v_mov_b32_e32 v4, 0x37800000
	v_lshlrev_b32_e32 v3, 21, v3
	v_and_b32_e32 v2, 0x80000000, v2
	v_lshl_add_u32 v4, v5, 23, v4
	v_or3_b32 v2, v2, v4, v3
.LBB17_579:
	s_or_b64 exec, exec, s[28:29]
	s_mov_b64 s[0:1], 0
	s_branch .LBB17_585
.LBB17_580:
	s_mov_b64 s[28:29], -1
                                        ; implicit-def: $vgpr2
	s_branch .LBB17_591
.LBB17_581:
	s_or_saveexec_b64 s[28:29], s[28:29]
	v_mov_b32_e32 v2, 0x7f800001
	s_xor_b64 exec, exec, s[28:29]
	s_cbranch_execz .LBB17_564
.LBB17_582:
	v_cmp_ne_u16_e32 vcc, 0, v3
	s_andn2_b64 s[0:1], s[0:1], exec
	s_and_b64 s[30:31], vcc, exec
	v_mov_b32_e32 v2, 0
	s_or_b64 s[0:1], s[0:1], s[30:31]
	s_or_b64 exec, exec, s[28:29]
	s_and_saveexec_b64 s[28:29], s[0:1]
	s_cbranch_execnz .LBB17_565
	s_branch .LBB17_566
.LBB17_583:
	s_mov_b64 s[0:1], -1
                                        ; implicit-def: $vgpr2
	s_branch .LBB17_588
.LBB17_584:
	s_mov_b64 s[0:1], -1
                                        ; implicit-def: $vgpr2
.LBB17_585:
	s_and_b64 vcc, exec, s[0:1]
	s_cbranch_vccz .LBB17_587
; %bb.586:
	global_load_ubyte v2, v[0:1], off
	s_mov_b32 s0, 0x7f800000
	s_waitcnt vmcnt(0)
	v_lshlrev_b32_e32 v2, 24, v2
	v_and_b32_e32 v3, 0x7f000000, v2
	v_ffbh_u32_e32 v4, v3
	v_min_u32_e32 v4, 32, v4
	v_sub_u32_e64 v4, v4, 4 clamp
	v_lshlrev_b32_e32 v6, v4, v3
	v_lshlrev_b32_e32 v4, 23, v4
	v_lshrrev_b32_e32 v6, 4, v6
	v_add_u32_e32 v5, 0x1000000, v3
	v_sub_u32_e32 v4, v6, v4
	v_ashrrev_i32_e32 v5, 8, v5
	v_add_u32_e32 v4, 0x3c000000, v4
	v_and_or_b32 v4, v5, s0, v4
	v_cmp_ne_u32_e32 vcc, 0, v3
	v_cndmask_b32_e32 v3, 0, v4, vcc
	s_brev_b32 s0, 1
	v_and_or_b32 v2, v2, s0, v3
.LBB17_587:
	s_mov_b64 s[0:1], 0
.LBB17_588:
	s_andn2_b64 vcc, exec, s[0:1]
	s_cbranch_vccnz .LBB17_590
; %bb.589:
	global_load_ubyte v2, v[0:1], off
	s_movk_i32 s0, 0x7f00
	s_brev_b32 s1, 16
	s_waitcnt vmcnt(0)
	v_lshlrev_b16_e32 v3, 8, v2
	v_lshlrev_b32_e32 v2, 25, v2
	v_lshrrev_b32_e32 v4, 4, v2
	v_and_or_b32 v5, v3, s0, 0.5
	v_or_b32_e32 v4, 0x70000000, v4
	v_add_f32_e32 v5, -0.5, v5
	v_mul_f32_e32 v4, 0x7800000, v4
	v_cmp_gt_u32_e32 vcc, s1, v2
	v_bfe_i32 v3, v3, 0, 16
	v_cndmask_b32_e32 v2, v4, v5, vcc
	s_brev_b32 s0, 1
	v_and_or_b32 v2, v3, s0, v2
.LBB17_590:
	s_mov_b64 s[28:29], 0
	s_mov_b64 s[0:1], -1
.LBB17_591:
	s_andn2_b64 vcc, exec, s[28:29]
	s_cbranch_vccnz .LBB17_604
; %bb.592:
	s_cmp_gt_i32 s34, 14
	s_cbranch_scc0 .LBB17_595
; %bb.593:
	s_cmp_eq_u32 s34, 15
	s_cbranch_scc0 .LBB17_598
; %bb.594:
	global_load_ushort v2, v[0:1], off
	s_mov_b64 s[0:1], -1
	s_mov_b64 s[26:27], 0
	s_waitcnt vmcnt(0)
	v_lshlrev_b32_e32 v2, 16, v2
	s_branch .LBB17_599
.LBB17_595:
	s_mov_b64 s[28:29], -1
                                        ; implicit-def: $vgpr2
	s_branch .LBB17_600
.LBB17_596:
	s_or_saveexec_b64 s[28:29], s[28:29]
	v_mov_b32_e32 v2, 0x7f800001
	s_xor_b64 exec, exec, s[28:29]
	s_cbranch_execz .LBB17_577
.LBB17_597:
	v_cmp_ne_u16_e32 vcc, 0, v3
	s_andn2_b64 s[0:1], s[0:1], exec
	s_and_b64 s[30:31], vcc, exec
	v_mov_b32_e32 v2, 0
	s_or_b64 s[0:1], s[0:1], s[30:31]
	s_or_b64 exec, exec, s[28:29]
	s_and_saveexec_b64 s[28:29], s[0:1]
	s_cbranch_execnz .LBB17_578
	s_branch .LBB17_579
.LBB17_598:
	s_mov_b64 s[26:27], -1
                                        ; implicit-def: $vgpr2
.LBB17_599:
	s_mov_b64 s[28:29], 0
.LBB17_600:
	s_and_b64 vcc, exec, s[28:29]
	s_cbranch_vccz .LBB17_604
; %bb.601:
	s_cmp_eq_u32 s34, 11
	s_cbranch_scc0 .LBB17_603
; %bb.602:
	global_load_ubyte v2, v[0:1], off
	s_mov_b64 s[0:1], -1
	s_mov_b64 s[26:27], 0
	s_waitcnt vmcnt(0)
	v_cmp_ne_u16_e32 vcc, 0, v2
	v_cndmask_b32_e64 v2, 0, 1.0, vcc
	s_branch .LBB17_604
.LBB17_603:
	s_mov_b64 s[26:27], -1
                                        ; implicit-def: $vgpr2
.LBB17_604:
	s_mov_b64 s[28:29], 0
.LBB17_605:
	s_and_b64 vcc, exec, s[28:29]
	s_cbranch_vccz .LBB17_654
; %bb.606:
	s_cmp_lt_i32 s34, 5
	s_cbranch_scc1 .LBB17_611
; %bb.607:
	s_cmp_lt_i32 s34, 8
	s_cbranch_scc1 .LBB17_612
	;; [unrolled: 3-line block ×3, first 2 shown]
; %bb.609:
	s_cmp_gt_i32 s34, 9
	s_cbranch_scc0 .LBB17_614
; %bb.610:
	global_load_dwordx2 v[2:3], v[0:1], off
	s_mov_b64 s[0:1], 0
	s_waitcnt vmcnt(0)
	v_cvt_f32_f64_e32 v2, v[2:3]
	s_branch .LBB17_615
.LBB17_611:
	s_mov_b64 s[0:1], -1
                                        ; implicit-def: $vgpr2
	s_branch .LBB17_633
.LBB17_612:
	s_mov_b64 s[0:1], -1
                                        ; implicit-def: $vgpr2
	s_branch .LBB17_621
.LBB17_613:
	s_mov_b64 s[0:1], -1
                                        ; implicit-def: $vgpr2
	s_branch .LBB17_618
.LBB17_614:
	s_mov_b64 s[0:1], -1
                                        ; implicit-def: $vgpr2
.LBB17_615:
	s_andn2_b64 vcc, exec, s[0:1]
	s_cbranch_vccnz .LBB17_617
; %bb.616:
	global_load_dword v2, v[0:1], off
.LBB17_617:
	s_mov_b64 s[0:1], 0
.LBB17_618:
	s_andn2_b64 vcc, exec, s[0:1]
	s_cbranch_vccnz .LBB17_620
; %bb.619:
	global_load_dword v2, v[0:1], off
	s_waitcnt vmcnt(0)
	v_cvt_f32_f16_e32 v2, v2
.LBB17_620:
	s_mov_b64 s[0:1], 0
.LBB17_621:
	s_andn2_b64 vcc, exec, s[0:1]
	s_cbranch_vccnz .LBB17_632
; %bb.622:
	s_cmp_lt_i32 s34, 6
	s_cbranch_scc1 .LBB17_625
; %bb.623:
	s_cmp_gt_i32 s34, 6
	s_cbranch_scc0 .LBB17_626
; %bb.624:
	global_load_dwordx2 v[2:3], v[0:1], off
	s_mov_b64 s[0:1], 0
	s_waitcnt vmcnt(0)
	v_cvt_f32_f64_e32 v2, v[2:3]
	s_branch .LBB17_627
.LBB17_625:
	s_mov_b64 s[0:1], -1
                                        ; implicit-def: $vgpr2
	s_branch .LBB17_630
.LBB17_626:
	s_mov_b64 s[0:1], -1
                                        ; implicit-def: $vgpr2
.LBB17_627:
	s_andn2_b64 vcc, exec, s[0:1]
	s_cbranch_vccnz .LBB17_629
; %bb.628:
	global_load_dword v2, v[0:1], off
.LBB17_629:
	s_mov_b64 s[0:1], 0
.LBB17_630:
	s_andn2_b64 vcc, exec, s[0:1]
	s_cbranch_vccnz .LBB17_632
; %bb.631:
	global_load_ushort v2, v[0:1], off
	s_waitcnt vmcnt(0)
	v_cvt_f32_f16_e32 v2, v2
.LBB17_632:
	s_mov_b64 s[0:1], 0
.LBB17_633:
	s_andn2_b64 vcc, exec, s[0:1]
	s_cbranch_vccnz .LBB17_653
; %bb.634:
	s_cmp_lt_i32 s34, 2
	s_cbranch_scc1 .LBB17_638
; %bb.635:
	s_cmp_lt_i32 s34, 3
	s_cbranch_scc1 .LBB17_639
; %bb.636:
	s_cmp_gt_i32 s34, 3
	s_cbranch_scc0 .LBB17_640
; %bb.637:
	global_load_dwordx2 v[2:3], v[0:1], off
	s_mov_b64 s[0:1], 0
	s_waitcnt vmcnt(0)
	v_xor_b32_e32 v5, v2, v3
	v_ffbh_i32_e32 v4, v3
	v_ashrrev_i32_e32 v5, 31, v5
	v_add_u32_e32 v4, -1, v4
	v_add_u32_e32 v5, 32, v5
	v_min_u32_e32 v4, v4, v5
	v_lshlrev_b64 v[2:3], v4, v[2:3]
	v_min_u32_e32 v2, 1, v2
	v_or_b32_e32 v2, v3, v2
	v_cvt_f32_i32_e32 v2, v2
	v_sub_u32_e32 v3, 32, v4
	v_ldexp_f32 v2, v2, v3
	s_branch .LBB17_641
.LBB17_638:
	s_mov_b64 s[0:1], -1
                                        ; implicit-def: $vgpr2
	s_branch .LBB17_647
.LBB17_639:
	s_mov_b64 s[0:1], -1
                                        ; implicit-def: $vgpr2
	s_branch .LBB17_644
.LBB17_640:
	s_mov_b64 s[0:1], -1
                                        ; implicit-def: $vgpr2
.LBB17_641:
	s_andn2_b64 vcc, exec, s[0:1]
	s_cbranch_vccnz .LBB17_643
; %bb.642:
	global_load_dword v2, v[0:1], off
	s_waitcnt vmcnt(0)
	v_cvt_f32_i32_e32 v2, v2
.LBB17_643:
	s_mov_b64 s[0:1], 0
.LBB17_644:
	s_andn2_b64 vcc, exec, s[0:1]
	s_cbranch_vccnz .LBB17_646
; %bb.645:
	global_load_sshort v2, v[0:1], off
	s_waitcnt vmcnt(0)
	v_cvt_f32_i32_e32 v2, v2
.LBB17_646:
	s_mov_b64 s[0:1], 0
.LBB17_647:
	s_andn2_b64 vcc, exec, s[0:1]
	s_cbranch_vccnz .LBB17_653
; %bb.648:
	s_cmp_gt_i32 s34, 0
	s_cbranch_scc0 .LBB17_650
; %bb.649:
	global_load_sbyte v2, v[0:1], off
	s_mov_b64 s[0:1], 0
	s_waitcnt vmcnt(0)
	v_cvt_f32_i32_e32 v2, v2
	s_branch .LBB17_651
.LBB17_650:
	s_mov_b64 s[0:1], -1
                                        ; implicit-def: $vgpr2
.LBB17_651:
	s_andn2_b64 vcc, exec, s[0:1]
	s_cbranch_vccnz .LBB17_653
; %bb.652:
	global_load_ubyte v0, v[0:1], off
	s_waitcnt vmcnt(0)
	v_cvt_f32_ubyte0_e32 v2, v0
.LBB17_653:
	s_mov_b64 s[0:1], -1
.LBB17_654:
	s_andn2_b64 vcc, exec, s[0:1]
	s_cbranch_vccnz .LBB17_666
; %bb.655:
	s_mov_b32 s0, 0x41000000
	s_waitcnt vmcnt(0)
	v_cmp_le_f32_e64 s[0:1], |v2|, s0
                                        ; implicit-def: $vgpr0
	s_and_saveexec_b64 s[28:29], s[0:1]
	s_xor_b64 s[0:1], exec, s[28:29]
	s_cbranch_execz .LBB17_657
; %bb.656:
	v_fma_f32 v0, |v2|, 0.5, -2.0
	v_mov_b32_e32 v1, 0x24199b15
	v_fmac_f32_e32 v1, 0xa2a2e5b9, v0
	v_mov_b32_e32 v3, 0x22a2e5b9
	v_fmac_f32_e32 v3, v0, v1
	v_add_f32_e32 v3, 0xa58c275c, v3
	v_fma_f32 v1, v0, v3, -v1
	v_add_f32_e32 v1, 0x26f736c5, v1
	v_fma_f32 v3, v0, v1, -v3
	;; [unrolled: 2-line block ×22, first 2 shown]
	v_add_f32_e32 v3, 0xbcc274f8, v3
	s_mov_b32 s28, 0x3fb8aa3b
	v_fma_f32 v1, v0, v3, -v1
	v_mul_f32_e64 v4, |v2|, s28
	v_add_f32_e32 v1, 0x3d49f456, v1
	v_rndne_f32_e32 v5, v4
	v_fma_f32 v3, v0, v1, -v3
	v_sub_f32_e32 v6, v4, v5
	v_fma_f32 v4, |v2|, s28, -v4
	s_mov_b32 s28, 0x32a5705f
	v_add_f32_e32 v3, 0xbdc25b82, v3
	v_fma_f32 v4, |v2|, s28, v4
	v_fma_f32 v1, v0, v3, -v1
	v_add_f32_e32 v4, v6, v4
	v_add_f32_e32 v1, 0x3e2fbd64, v1
	v_exp_f32_e32 v4, v4
	v_cvt_i32_f32_e32 v5, v5
	v_fma_f32 v3, v0, v1, -v3
	v_add_f32_e32 v3, 0xbe9bff5e, v3
	v_fma_f32 v0, v0, v3, -v1
	s_mov_b32 s28, 0xc2ce8ed0
	v_add_f32_e32 v0, 0x3f2d4275, v0
	v_ldexp_f32 v3, v4, v5
	v_cmp_nlt_f32_e64 vcc, |v2|, s28
	s_mov_b32 s28, 0x42b17218
	v_cndmask_b32_e32 v3, 0, v3, vcc
	v_mov_b32_e32 v4, 0x7f800000
	v_cmp_ngt_f32_e64 vcc, |v2|, s28
	v_sub_f32_e32 v0, v0, v1
	v_cndmask_b32_e32 v2, v4, v3, vcc
	v_mul_f32_e32 v0, 0.5, v0
	v_mul_f32_e32 v0, v2, v0
                                        ; implicit-def: $vgpr2
.LBB17_657:
	s_andn2_saveexec_b64 s[28:29], s[0:1]
	s_cbranch_execz .LBB17_659
; %bb.658:
	v_and_b32_e32 v0, 0x7fffffff, v2
	s_mov_b32 s30, 0x42000000
	v_div_scale_f32 v1, s[0:1], v0, v0, s30
	v_div_scale_f32 v0, vcc, s30, v0, s30
	s_mov_b32 s0, 0x3fb8aa3b
	v_mul_f32_e64 v5, |v2|, s0
	s_mov_b32 s1, 0x32a5705f
	v_rndne_f32_e32 v9, v5
	v_fma_f32 v10, |v2|, s0, -v5
	s_mov_b32 s35, 0xf800000
	s_mov_b32 s36, 0x4f800000
	v_sub_f32_e32 v5, v5, v9
	v_mul_f32_e64 v8, |v2|, s36
	v_mov_b32_e32 v3, 0xa2b236d3
	v_mov_b32_e32 v4, 0x23056dbb
	s_mov_b32 s31, 0xc2ce8ed0
	v_rcp_f32_e32 v6, v1
	s_mov_b32 s34, 0x42b17218
	v_fma_f32 v11, -v1, v6, 1.0
	v_fmac_f32_e32 v6, v11, v6
	v_mul_f32_e32 v11, v0, v6
	v_fma_f32 v12, -v1, v11, v0
	v_fmac_f32_e32 v11, v12, v6
	v_fma_f32 v0, -v1, v11, v0
	v_div_fmas_f32 v0, v0, v6, v11
	v_fma_f32 v6, |v2|, s1, v10
	v_cmp_lt_f32_e64 vcc, |v2|, s35
	v_add_f32_e32 v5, v5, v6
	v_cndmask_b32_e64 v1, |v2|, v8, vcc
	v_cvt_i32_f32_e32 v8, v9
	v_exp_f32_e32 v5, v5
	v_cmp_nlt_f32_e64 s[0:1], |v2|, s31
	v_sqrt_f32_e32 v9, v1
	v_mov_b32_e32 v6, 0x7f800000
	v_ldexp_f32 v5, v5, v8
	v_cndmask_b32_e64 v5, 0, v5, s[0:1]
	v_cmp_ngt_f32_e64 s[0:1], |v2|, s34
	v_add_u32_e32 v10, -1, v9
	v_fma_f32 v11, -v10, v9, v1
	v_cndmask_b32_e64 v5, v6, v5, s[0:1]
	v_div_fixup_f32 v0, v0, |v2|, s30
	v_add_f32_e32 v0, -2.0, v0
	v_fmac_f32_e32 v3, 0xa3056dbb, v0
	v_fmac_f32_e32 v4, v0, v3
	v_add_f32_e32 v2, 0x244df0c1, v4
	v_fma_f32 v3, v0, v2, -v3
	v_add_f32_e32 v3, 0x241f9ee8, v3
	v_fma_f32 v2, v0, v3, -v2
	;; [unrolled: 2-line block ×22, first 2 shown]
	v_add_u32_e32 v3, 1, v9
	v_add_f32_e32 v0, 0x3f4df315, v0
	v_cmp_ge_f32_e64 s[0:1], 0, v11
	v_fma_f32 v4, -v3, v9, v1
	v_sub_f32_e32 v0, v0, v2
	v_cndmask_b32_e64 v2, v9, v10, s[0:1]
	v_cmp_lt_f32_e64 s[0:1], 0, v4
	v_cndmask_b32_e64 v2, v2, v3, s[0:1]
	v_mul_f32_e32 v3, 0x37800000, v2
	v_cndmask_b32_e32 v2, v2, v3, vcc
	v_mov_b32_e32 v3, 0x260
	v_mul_f32_e32 v0, 0.5, v0
	v_cmp_class_f32_e32 vcc, v1, v3
	v_mul_f32_e32 v0, v5, v0
	v_cndmask_b32_e32 v1, v2, v1, vcc
	v_div_scale_f32 v2, s[0:1], v1, v1, v0
	v_div_scale_f32 v3, vcc, v0, v1, v0
	v_rcp_f32_e32 v4, v2
	v_fma_f32 v5, -v2, v4, 1.0
	v_fmac_f32_e32 v4, v5, v4
	v_mul_f32_e32 v5, v3, v4
	v_fma_f32 v6, -v2, v5, v3
	v_fmac_f32_e32 v5, v6, v4
	v_fma_f32 v2, -v2, v5, v3
	v_div_fmas_f32 v2, v2, v4, v5
	v_div_fixup_f32 v0, v2, v1, v0
.LBB17_659:
	s_or_b64 exec, exec, s[28:29]
	v_mul_lo_u32 v1, v7, s2
	v_mov_b32_e32 v3, s9
	s_and_b32 s36, s33, 0xff
	s_cmp_lt_i32 s36, 11
	v_ashrrev_i32_e32 v4, 31, v1
	v_add_co_u32_e32 v2, vcc, s8, v1
	v_addc_co_u32_e32 v3, vcc, v3, v4, vcc
	s_cbranch_scc1 .LBB17_667
; %bb.660:
	s_and_b32 s37, 0xffff, s36
	s_cmp_gt_i32 s37, 25
	s_cbranch_scc0 .LBB17_668
; %bb.661:
	s_cmp_gt_i32 s37, 28
	s_cbranch_scc0 .LBB17_669
; %bb.662:
	;; [unrolled: 3-line block ×4, first 2 shown]
	s_mov_b64 s[30:31], 0
	s_mov_b64 s[0:1], -1
	s_cmp_eq_u32 s37, 46
	s_mov_b64 s[28:29], 0
	s_cbranch_scc0 .LBB17_672
; %bb.665:
	v_bfe_u32 v1, v0, 16, 1
	s_movk_i32 s0, 0x7fff
	v_add3_u32 v1, v0, v1, s0
	v_cmp_o_f32_e32 vcc, v0, v0
	v_mov_b32_e32 v4, 0x7fc0
	v_cndmask_b32_sdwa v1, v4, v1, vcc dst_sel:DWORD dst_unused:UNUSED_PAD src0_sel:DWORD src1_sel:WORD_1
	global_store_dword v[2:3], v1, off
	s_mov_b64 s[28:29], -1
	s_mov_b64 s[0:1], 0
	s_branch .LBB17_672
.LBB17_666:
	s_mov_b64 s[30:31], 0
                                        ; implicit-def: $vgpr7
	s_mov_b64 s[0:1], s[20:21]
	s_branch .LBB17_783
.LBB17_667:
	s_mov_b64 s[30:31], -1
	s_mov_b64 s[28:29], 0
	s_mov_b64 s[0:1], s[20:21]
	s_branch .LBB17_741
.LBB17_668:
	s_mov_b64 s[30:31], -1
	s_mov_b64 s[28:29], 0
	s_mov_b64 s[0:1], s[20:21]
	s_branch .LBB17_699
.LBB17_669:
	s_mov_b64 s[30:31], -1
	s_mov_b64 s[28:29], 0
	s_mov_b64 s[0:1], s[20:21]
	s_branch .LBB17_682
.LBB17_670:
	s_mov_b64 s[30:31], -1
	s_mov_b64 s[28:29], 0
	s_mov_b64 s[0:1], s[20:21]
	s_branch .LBB17_678
.LBB17_671:
	s_mov_b64 s[30:31], -1
	s_mov_b64 s[28:29], 0
	s_mov_b64 s[0:1], s[20:21]
.LBB17_672:
	s_and_b64 vcc, exec, s[30:31]
	s_cbranch_vccz .LBB17_677
; %bb.673:
	s_cmp_eq_u32 s37, 44
	s_mov_b64 s[0:1], -1
	s_cbranch_scc0 .LBB17_677
; %bb.674:
	v_bfe_u32 v1, v0, 23, 8
	s_movk_i32 s0, 0xff
	v_cmp_ne_u32_e32 vcc, s0, v1
	v_mov_b32_e32 v4, 0xff
	s_and_saveexec_b64 s[28:29], vcc
; %bb.675:
	s_mov_b32 s0, 0x3fffff
	v_and_b32_e32 v5, 0x400000, v0
	v_and_or_b32 v1, v0, s0, v1
	v_cmp_ne_u32_e32 vcc, 0, v5
	v_cmp_ne_u32_e64 s[0:1], 0, v1
	s_and_b64 s[0:1], vcc, s[0:1]
	v_lshrrev_b32_e32 v4, 23, v0
	v_cndmask_b32_e64 v1, 0, 1, s[0:1]
	v_add_u32_e32 v4, v4, v1
; %bb.676:
	s_or_b64 exec, exec, s[28:29]
	s_mov_b64 s[28:29], -1
	s_mov_b64 s[0:1], 0
	global_store_byte v[2:3], v4, off
.LBB17_677:
	s_mov_b64 s[30:31], 0
.LBB17_678:
	s_and_b64 vcc, exec, s[30:31]
	s_cbranch_vccz .LBB17_681
; %bb.679:
	s_cmp_eq_u32 s37, 29
	s_mov_b64 s[0:1], -1
	s_cbranch_scc0 .LBB17_681
; %bb.680:
	v_trunc_f32_e32 v1, v0
	v_mul_f32_e32 v4, 0x2f800000, v1
	v_floor_f32_e32 v4, v4
	v_fmac_f32_e32 v1, 0xcf800000, v4
	v_cvt_u32_f32_e32 v5, v4
	v_cvt_u32_f32_e32 v4, v1
	s_mov_b64 s[28:29], -1
	s_mov_b64 s[0:1], 0
	s_mov_b64 s[30:31], 0
	global_store_dwordx2 v[2:3], v[4:5], off
	s_branch .LBB17_682
.LBB17_681:
	s_mov_b64 s[30:31], 0
.LBB17_682:
	s_and_b64 vcc, exec, s[30:31]
	s_cbranch_vccz .LBB17_698
; %bb.683:
	s_cmp_lt_i32 s37, 27
	s_mov_b64 s[28:29], -1
	s_cbranch_scc1 .LBB17_689
; %bb.684:
	v_cvt_u32_f32_e32 v1, v0
	s_cmp_gt_i32 s37, 27
	s_cbranch_scc0 .LBB17_686
; %bb.685:
	s_mov_b64 s[28:29], 0
	global_store_dword v[2:3], v1, off
.LBB17_686:
	s_andn2_b64 vcc, exec, s[28:29]
	s_cbranch_vccnz .LBB17_688
; %bb.687:
	global_store_short v[2:3], v1, off
.LBB17_688:
	s_mov_b64 s[28:29], 0
.LBB17_689:
	s_andn2_b64 vcc, exec, s[28:29]
	s_cbranch_vccnz .LBB17_697
; %bb.690:
	v_and_b32_e32 v1, 0x7fffffff, v0
	s_mov_b32 s28, 0x43800000
	v_cmp_gt_u32_e32 vcc, s28, v1
	v_mov_b32_e32 v4, 0x80
	s_and_saveexec_b64 s[28:29], vcc
	s_cbranch_execz .LBB17_696
; %bb.691:
	s_mov_b32 s30, 0x3bffffff
	v_cmp_lt_u32_e32 vcc, s30, v1
	s_mov_b64 s[30:31], 0
                                        ; implicit-def: $vgpr1
	s_and_saveexec_b64 s[34:35], vcc
	s_xor_b64 s[34:35], exec, s[34:35]
	s_cbranch_execz .LBB17_797
; %bb.692:
	v_bfe_u32 v1, v0, 20, 1
	s_mov_b32 s39, 0x487ffff
	v_add3_u32 v1, v0, v1, s39
	s_mov_b64 s[30:31], exec
	v_lshrrev_b32_e32 v1, 20, v1
	s_andn2_saveexec_b64 s[34:35], s[34:35]
	s_cbranch_execnz .LBB17_798
.LBB17_693:
	s_or_b64 exec, exec, s[34:35]
	v_mov_b32_e32 v4, 0
	s_and_saveexec_b64 s[34:35], s[30:31]
.LBB17_694:
	v_lshrrev_b32_e32 v4, 24, v0
	s_movk_i32 s30, 0x80
	v_and_or_b32 v4, v4, s30, v1
.LBB17_695:
	s_or_b64 exec, exec, s[34:35]
.LBB17_696:
	s_or_b64 exec, exec, s[28:29]
	global_store_byte v[2:3], v4, off
.LBB17_697:
	s_mov_b64 s[28:29], -1
.LBB17_698:
	s_mov_b64 s[30:31], 0
.LBB17_699:
	s_and_b64 vcc, exec, s[30:31]
	s_cbranch_vccz .LBB17_740
; %bb.700:
	s_cmp_gt_i32 s37, 22
	s_mov_b64 s[30:31], -1
	s_cbranch_scc0 .LBB17_732
; %bb.701:
	s_cmp_lt_i32 s37, 24
	s_mov_b64 s[28:29], -1
	s_cbranch_scc1 .LBB17_721
; %bb.702:
	s_cmp_gt_i32 s37, 24
	s_cbranch_scc0 .LBB17_710
; %bb.703:
	v_and_b32_e32 v1, 0x7fffffff, v0
	s_mov_b32 s28, 0x47800000
	v_cmp_gt_u32_e32 vcc, s28, v1
	v_mov_b32_e32 v4, 0x80
	s_and_saveexec_b64 s[28:29], vcc
	s_cbranch_execz .LBB17_709
; %bb.704:
	s_mov_b32 s30, 0x37ffffff
	v_cmp_lt_u32_e32 vcc, s30, v1
	s_mov_b64 s[30:31], 0
                                        ; implicit-def: $vgpr1
	s_and_saveexec_b64 s[34:35], vcc
	s_xor_b64 s[34:35], exec, s[34:35]
	s_cbranch_execz .LBB17_800
; %bb.705:
	v_bfe_u32 v1, v0, 21, 1
	s_mov_b32 s39, 0x88fffff
	v_add3_u32 v1, v0, v1, s39
	s_mov_b64 s[30:31], exec
	v_lshrrev_b32_e32 v1, 21, v1
	s_andn2_saveexec_b64 s[34:35], s[34:35]
	s_cbranch_execnz .LBB17_801
.LBB17_706:
	s_or_b64 exec, exec, s[34:35]
	v_mov_b32_e32 v4, 0
	s_and_saveexec_b64 s[34:35], s[30:31]
.LBB17_707:
	v_lshrrev_b32_e32 v4, 24, v0
	s_movk_i32 s30, 0x80
	v_and_or_b32 v4, v4, s30, v1
.LBB17_708:
	s_or_b64 exec, exec, s[34:35]
.LBB17_709:
	s_or_b64 exec, exec, s[28:29]
	s_mov_b64 s[28:29], 0
	global_store_byte v[2:3], v4, off
.LBB17_710:
	s_and_b64 vcc, exec, s[28:29]
	s_cbranch_vccz .LBB17_720
; %bb.711:
	v_and_b32_e32 v4, 0x7fffffff, v0
	s_mov_b32 s28, 0x43f00000
	v_cmp_gt_u32_e32 vcc, s28, v4
                                        ; implicit-def: $vgpr1
	s_and_saveexec_b64 s[28:29], vcc
	s_xor_b64 s[28:29], exec, s[28:29]
	s_cbranch_execz .LBB17_717
; %bb.712:
	s_mov_b32 s30, 0x3c7fffff
	v_cmp_lt_u32_e32 vcc, s30, v4
                                        ; implicit-def: $vgpr1
	s_and_saveexec_b64 s[30:31], vcc
	s_xor_b64 s[30:31], exec, s[30:31]
; %bb.713:
	v_bfe_u32 v1, v0, 20, 1
	s_mov_b32 s34, 0x407ffff
	v_add3_u32 v1, v0, v1, s34
	v_lshrrev_b32_e32 v4, 20, v1
	v_and_b32_e32 v1, 0xff00000, v1
	s_mov_b32 s34, 0x7f00000
	v_mov_b32_e32 v5, 0x7e
	v_cmp_ne_u32_e32 vcc, s34, v1
	v_cndmask_b32_e32 v1, v5, v4, vcc
; %bb.714:
	s_andn2_saveexec_b64 s[30:31], s[30:31]
; %bb.715:
	s_mov_b32 s34, 0x46800000
	v_add_f32_e64 v1, |v0|, s34
; %bb.716:
	s_or_b64 exec, exec, s[30:31]
                                        ; implicit-def: $vgpr4
.LBB17_717:
	s_andn2_saveexec_b64 s[28:29], s[28:29]
; %bb.718:
	s_mov_b32 s30, 0x7f800000
	v_mov_b32_e32 v1, 0x7e
	v_mov_b32_e32 v5, 0x7f
	v_cmp_lt_u32_e32 vcc, s30, v4
	v_cndmask_b32_e32 v1, v1, v5, vcc
; %bb.719:
	s_or_b64 exec, exec, s[28:29]
	v_lshrrev_b32_e32 v4, 24, v0
	s_movk_i32 s28, 0x80
	v_and_or_b32 v1, v4, s28, v1
	global_store_byte v[2:3], v1, off
.LBB17_720:
	s_mov_b64 s[28:29], 0
.LBB17_721:
	s_andn2_b64 vcc, exec, s[28:29]
	s_cbranch_vccnz .LBB17_731
; %bb.722:
	v_and_b32_e32 v4, 0x7fffffff, v0
	s_mov_b32 s28, 0x47800000
	v_cmp_gt_u32_e32 vcc, s28, v4
                                        ; implicit-def: $vgpr1
	s_and_saveexec_b64 s[28:29], vcc
	s_xor_b64 s[28:29], exec, s[28:29]
	s_cbranch_execz .LBB17_728
; %bb.723:
	s_mov_b32 s30, 0x387fffff
	v_cmp_lt_u32_e32 vcc, s30, v4
                                        ; implicit-def: $vgpr1
	s_and_saveexec_b64 s[30:31], vcc
	s_xor_b64 s[30:31], exec, s[30:31]
; %bb.724:
	v_bfe_u32 v1, v0, 21, 1
	s_mov_b32 s34, 0x80fffff
	v_add3_u32 v1, v0, v1, s34
	v_lshrrev_b32_e32 v1, 21, v1
; %bb.725:
	s_andn2_saveexec_b64 s[30:31], s[30:31]
; %bb.726:
	s_mov_b32 s34, 0x43000000
	v_add_f32_e64 v1, |v0|, s34
; %bb.727:
	s_or_b64 exec, exec, s[30:31]
                                        ; implicit-def: $vgpr4
.LBB17_728:
	s_andn2_saveexec_b64 s[28:29], s[28:29]
; %bb.729:
	s_mov_b32 s30, 0x7f800000
	v_mov_b32_e32 v1, 0x7c
	v_mov_b32_e32 v5, 0x7f
	v_cmp_lt_u32_e32 vcc, s30, v4
	v_cndmask_b32_e32 v1, v1, v5, vcc
; %bb.730:
	s_or_b64 exec, exec, s[28:29]
	v_lshrrev_b32_e32 v4, 24, v0
	s_movk_i32 s28, 0x80
	v_and_or_b32 v1, v4, s28, v1
	global_store_byte v[2:3], v1, off
.LBB17_731:
	s_mov_b64 s[30:31], 0
	s_mov_b64 s[28:29], -1
.LBB17_732:
	s_andn2_b64 vcc, exec, s[30:31]
	s_cbranch_vccnz .LBB17_740
; %bb.733:
	s_cmp_gt_i32 s37, 14
	s_mov_b64 s[30:31], -1
	s_cbranch_scc0 .LBB17_737
; %bb.734:
	s_cmp_eq_u32 s37, 15
	s_mov_b64 s[0:1], -1
	s_cbranch_scc0 .LBB17_736
; %bb.735:
	v_bfe_u32 v1, v0, 16, 1
	s_movk_i32 s0, 0x7fff
	v_add3_u32 v1, v0, v1, s0
	v_cmp_o_f32_e32 vcc, v0, v0
	v_mov_b32_e32 v4, 0x7fc0
	v_cndmask_b32_sdwa v1, v4, v1, vcc dst_sel:DWORD dst_unused:UNUSED_PAD src0_sel:DWORD src1_sel:WORD_1
	global_store_short v[2:3], v1, off
	s_mov_b64 s[28:29], -1
	s_mov_b64 s[0:1], 0
.LBB17_736:
	s_mov_b64 s[30:31], 0
.LBB17_737:
	s_and_b64 vcc, exec, s[30:31]
	s_cbranch_vccz .LBB17_740
; %bb.738:
	s_cmp_eq_u32 s37, 11
	s_mov_b64 s[0:1], -1
	s_cbranch_scc0 .LBB17_740
; %bb.739:
	v_cmp_neq_f32_e32 vcc, 0, v0
	v_cndmask_b32_e64 v1, 0, 1, vcc
	s_mov_b64 s[28:29], -1
	s_mov_b64 s[0:1], 0
	global_store_byte v[2:3], v1, off
.LBB17_740:
	s_mov_b64 s[30:31], 0
.LBB17_741:
	s_and_b64 vcc, exec, s[30:31]
	s_cbranch_vccz .LBB17_780
; %bb.742:
	s_and_b32 s30, 0xffff, s36
	s_cmp_lt_i32 s30, 5
	s_mov_b64 s[28:29], -1
	s_cbranch_scc1 .LBB17_763
; %bb.743:
	s_cmp_lt_i32 s30, 8
	s_cbranch_scc1 .LBB17_753
; %bb.744:
	s_cmp_lt_i32 s30, 9
	s_cbranch_scc1 .LBB17_750
; %bb.745:
	s_cmp_gt_i32 s30, 9
	s_cbranch_scc0 .LBB17_747
; %bb.746:
	v_cvt_f64_f32_e32 v[8:9], v0
	v_mov_b32_e32 v10, 0
	v_mov_b32_e32 v11, v10
	s_mov_b64 s[28:29], 0
	global_store_dwordx4 v[2:3], v[8:11], off
.LBB17_747:
	s_andn2_b64 vcc, exec, s[28:29]
	s_cbranch_vccnz .LBB17_749
; %bb.748:
	v_mov_b32_e32 v1, 0
	global_store_dwordx2 v[2:3], v[0:1], off
.LBB17_749:
	s_mov_b64 s[28:29], 0
.LBB17_750:
	s_andn2_b64 vcc, exec, s[28:29]
	s_cbranch_vccnz .LBB17_752
; %bb.751:
	v_cvt_f16_f32_e32 v1, v0
	global_store_dword v[2:3], v1, off
.LBB17_752:
	s_mov_b64 s[28:29], 0
.LBB17_753:
	s_andn2_b64 vcc, exec, s[28:29]
	s_cbranch_vccnz .LBB17_762
; %bb.754:
	s_cmp_lt_i32 s30, 6
	s_mov_b64 s[28:29], -1
	s_cbranch_scc1 .LBB17_760
; %bb.755:
	s_cmp_gt_i32 s30, 6
	s_cbranch_scc0 .LBB17_757
; %bb.756:
	v_cvt_f64_f32_e32 v[4:5], v0
	s_mov_b64 s[28:29], 0
	global_store_dwordx2 v[2:3], v[4:5], off
.LBB17_757:
	s_andn2_b64 vcc, exec, s[28:29]
	s_cbranch_vccnz .LBB17_759
; %bb.758:
	global_store_dword v[2:3], v0, off
.LBB17_759:
	s_mov_b64 s[28:29], 0
.LBB17_760:
	s_andn2_b64 vcc, exec, s[28:29]
	s_cbranch_vccnz .LBB17_762
; %bb.761:
	v_cvt_f16_f32_e32 v1, v0
	global_store_short v[2:3], v1, off
.LBB17_762:
	s_mov_b64 s[28:29], 0
.LBB17_763:
	s_andn2_b64 vcc, exec, s[28:29]
	s_cbranch_vccnz .LBB17_779
; %bb.764:
	s_cmp_lt_i32 s30, 2
	s_mov_b64 s[28:29], -1
	s_cbranch_scc1 .LBB17_774
; %bb.765:
	s_cmp_lt_i32 s30, 3
	s_cbranch_scc1 .LBB17_771
; %bb.766:
	s_cmp_gt_i32 s30, 3
	s_cbranch_scc0 .LBB17_768
; %bb.767:
	v_trunc_f32_e32 v1, v0
	s_mov_b32 s28, 0x2f800000
	v_mul_f32_e64 v4, |v1|, s28
	v_floor_f32_e32 v4, v4
	s_mov_b32 s28, 0xcf800000
	v_cvt_u32_f32_e32 v5, v4
	v_fma_f32 v4, v4, s28, |v1|
	v_cvt_u32_f32_e32 v4, v4
	v_ashrrev_i32_e32 v1, 31, v1
	v_xor_b32_e32 v5, v5, v1
	s_mov_b64 s[28:29], 0
	v_xor_b32_e32 v4, v4, v1
	v_sub_co_u32_e32 v4, vcc, v4, v1
	v_subb_co_u32_e32 v5, vcc, v5, v1, vcc
	global_store_dwordx2 v[2:3], v[4:5], off
.LBB17_768:
	s_andn2_b64 vcc, exec, s[28:29]
	s_cbranch_vccnz .LBB17_770
; %bb.769:
	v_cvt_i32_f32_e32 v1, v0
	global_store_dword v[2:3], v1, off
.LBB17_770:
	s_mov_b64 s[28:29], 0
.LBB17_771:
	s_andn2_b64 vcc, exec, s[28:29]
	s_cbranch_vccnz .LBB17_773
; %bb.772:
	v_cvt_i32_f32_e32 v1, v0
	global_store_short v[2:3], v1, off
.LBB17_773:
	s_mov_b64 s[28:29], 0
.LBB17_774:
	s_andn2_b64 vcc, exec, s[28:29]
	s_cbranch_vccnz .LBB17_779
; %bb.775:
	s_cmp_gt_i32 s30, 0
	s_mov_b64 s[28:29], -1
	s_cbranch_scc0 .LBB17_777
; %bb.776:
	v_cvt_i32_f32_e32 v1, v0
	s_mov_b64 s[28:29], 0
	global_store_byte v[2:3], v1, off
.LBB17_777:
	s_andn2_b64 vcc, exec, s[28:29]
	s_cbranch_vccnz .LBB17_779
; %bb.778:
	v_trunc_f32_e32 v0, v0
	s_mov_b32 s28, 0x2f800000
	v_mul_f32_e64 v1, |v0|, s28
	v_floor_f32_e32 v1, v1
	s_mov_b32 s28, 0xcf800000
	v_fma_f32 v1, v1, s28, |v0|
	v_cvt_u32_f32_e32 v1, v1
	v_ashrrev_i32_e32 v0, 31, v0
	v_xor_b32_e32 v1, v1, v0
	v_sub_u32_e32 v0, v1, v0
	global_store_byte v[2:3], v0, off
.LBB17_779:
	s_mov_b64 s[28:29], -1
.LBB17_780:
	s_andn2_b64 vcc, exec, s[28:29]
	s_cbranch_vccnz .LBB17_782
; %bb.781:
	v_add_u32_e32 v7, 0x80, v7
	s_mov_b64 s[30:31], -1
	s_branch .LBB17_783
.LBB17_782:
	s_mov_b64 s[30:31], 0
                                        ; implicit-def: $vgpr7
.LBB17_783:
	s_andn2_b64 s[28:29], s[20:21], exec
	s_and_b64 s[0:1], s[0:1], exec
	s_or_b64 s[28:29], s[28:29], s[0:1]
	s_andn2_b64 s[0:1], s[18:19], exec
	s_and_b64 s[26:27], s[26:27], exec
	s_or_b64 s[0:1], s[0:1], s[26:27]
	s_orn2_b64 s[34:35], s[30:31], exec
.LBB17_784:
	s_or_b64 exec, exec, s[24:25]
	s_mov_b64 s[30:31], 0
	s_mov_b64 s[26:27], 0
	s_mov_b64 s[36:37], 0
                                        ; implicit-def: $vgpr0_vgpr1
                                        ; implicit-def: $vgpr4
	s_and_saveexec_b64 s[24:25], s[34:35]
	s_cbranch_execz .LBB17_869
; %bb.785:
	v_cmp_gt_i32_e32 vcc, s38, v7
	s_mov_b64 s[34:35], 0
	s_mov_b64 s[38:39], s[0:1]
	;; [unrolled: 1-line block ×3, first 2 shown]
                                        ; implicit-def: $vgpr0_vgpr1
                                        ; implicit-def: $vgpr4
	s_and_saveexec_b64 s[26:27], vcc
	s_cbranch_execz .LBB17_868
; %bb.786:
	v_mul_lo_u32 v0, v7, s3
	v_mov_b32_e32 v1, s11
	s_and_b32 s43, 0xffff, s42
	s_cmp_lt_i32 s43, 11
	s_waitcnt vmcnt(0)
	v_ashrrev_i32_e32 v2, 31, v0
	v_add_co_u32_e32 v0, vcc, s10, v0
	v_addc_co_u32_e32 v1, vcc, v1, v2, vcc
	s_cbranch_scc1 .LBB17_793
; %bb.787:
	s_cmp_gt_i32 s43, 25
	s_cbranch_scc0 .LBB17_794
; %bb.788:
	s_cmp_gt_i32 s43, 28
	s_cbranch_scc0 .LBB17_795
	;; [unrolled: 3-line block ×4, first 2 shown]
; %bb.791:
	s_cmp_eq_u32 s43, 46
	s_mov_b64 s[38:39], 0
	s_cbranch_scc0 .LBB17_802
; %bb.792:
	global_load_dword v2, v[0:1], off
	s_mov_b64 s[36:37], -1
	s_waitcnt vmcnt(0)
	v_lshlrev_b32_e32 v4, 16, v2
	s_branch .LBB17_804
.LBB17_793:
	s_mov_b64 s[38:39], -1
                                        ; implicit-def: $vgpr4
	s_mov_b64 s[30:31], s[0:1]
	s_branch .LBB17_867
.LBB17_794:
	s_mov_b64 s[38:39], -1
	s_mov_b64 s[30:31], s[0:1]
                                        ; implicit-def: $vgpr4
	s_branch .LBB17_833
.LBB17_795:
	s_mov_b64 s[38:39], -1
	s_mov_b64 s[30:31], s[0:1]
                                        ; implicit-def: $vgpr4
	s_branch .LBB17_814
.LBB17_796:
	s_mov_b64 s[38:39], -1
	s_mov_b64 s[30:31], s[0:1]
                                        ; implicit-def: $vgpr4
	s_branch .LBB17_809
.LBB17_797:
	s_andn2_saveexec_b64 s[34:35], s[34:35]
	s_cbranch_execz .LBB17_693
.LBB17_798:
	s_mov_b32 s39, 0x46000000
	v_add_f32_e64 v1, |v0|, s39
	v_and_b32_e32 v1, 0xff, v1
	v_cmp_ne_u32_e32 vcc, 0, v1
	s_andn2_b64 s[30:31], s[30:31], exec
	s_and_b64 s[40:41], vcc, exec
	s_or_b64 s[30:31], s[30:31], s[40:41]
	s_or_b64 exec, exec, s[34:35]
	v_mov_b32_e32 v4, 0
	s_and_saveexec_b64 s[34:35], s[30:31]
	s_cbranch_execnz .LBB17_694
	s_branch .LBB17_695
.LBB17_799:
	s_mov_b64 s[38:39], -1
	s_mov_b64 s[30:31], s[0:1]
	s_branch .LBB17_803
.LBB17_800:
	s_andn2_saveexec_b64 s[34:35], s[34:35]
	s_cbranch_execz .LBB17_706
.LBB17_801:
	s_mov_b32 s39, 0x42800000
	v_add_f32_e64 v1, |v0|, s39
	v_and_b32_e32 v1, 0xff, v1
	v_cmp_ne_u32_e32 vcc, 0, v1
	s_andn2_b64 s[30:31], s[30:31], exec
	s_and_b64 s[40:41], vcc, exec
	s_or_b64 s[30:31], s[30:31], s[40:41]
	s_or_b64 exec, exec, s[34:35]
	v_mov_b32_e32 v4, 0
	s_and_saveexec_b64 s[34:35], s[30:31]
	s_cbranch_execnz .LBB17_707
	s_branch .LBB17_708
.LBB17_802:
	s_mov_b64 s[30:31], -1
.LBB17_803:
                                        ; implicit-def: $vgpr4
.LBB17_804:
	s_and_b64 vcc, exec, s[38:39]
	s_cbranch_vccz .LBB17_808
; %bb.805:
	s_cmp_eq_u32 s43, 44
	s_cbranch_scc0 .LBB17_807
; %bb.806:
	global_load_ubyte v2, v[0:1], off
	s_movk_i32 s36, 0xff
	v_mov_b32_e32 v3, 0x7f800001
	v_mov_b32_e32 v4, 0x400000
	s_mov_b64 s[30:31], 0
	s_waitcnt vmcnt(0)
	v_lshlrev_b32_e32 v5, 23, v2
	v_cmp_ne_u32_e32 vcc, s36, v2
	v_cndmask_b32_e32 v3, v3, v5, vcc
	v_cmp_ne_u32_e32 vcc, 0, v2
	v_cndmask_b32_e32 v4, v4, v3, vcc
	s_mov_b64 s[36:37], -1
	s_branch .LBB17_808
.LBB17_807:
	s_mov_b64 s[30:31], -1
                                        ; implicit-def: $vgpr4
.LBB17_808:
	s_mov_b64 s[38:39], 0
.LBB17_809:
	s_and_b64 vcc, exec, s[38:39]
	s_cbranch_vccz .LBB17_813
; %bb.810:
	s_cmp_eq_u32 s43, 29
	s_cbranch_scc0 .LBB17_812
; %bb.811:
	global_load_dwordx2 v[2:3], v[0:1], off
	s_mov_b64 s[30:31], 0
	s_mov_b64 s[36:37], -1
	s_mov_b64 s[38:39], 0
	s_waitcnt vmcnt(0)
	v_ffbh_u32_e32 v4, v3
	v_min_u32_e32 v4, 32, v4
	v_lshlrev_b64 v[2:3], v4, v[2:3]
	v_min_u32_e32 v2, 1, v2
	v_or_b32_e32 v2, v3, v2
	v_cvt_f32_u32_e32 v2, v2
	v_sub_u32_e32 v3, 32, v4
	v_ldexp_f32 v4, v2, v3
	s_branch .LBB17_814
.LBB17_812:
	s_mov_b64 s[30:31], -1
                                        ; implicit-def: $vgpr4
.LBB17_813:
	s_mov_b64 s[38:39], 0
.LBB17_814:
	s_and_b64 vcc, exec, s[38:39]
	s_cbranch_vccz .LBB17_832
; %bb.815:
	s_cmp_lt_i32 s43, 27
	s_cbranch_scc1 .LBB17_818
; %bb.816:
	s_cmp_gt_i32 s43, 27
	s_cbranch_scc0 .LBB17_819
; %bb.817:
	global_load_dword v2, v[0:1], off
	s_mov_b64 s[36:37], 0
	s_waitcnt vmcnt(0)
	v_cvt_f32_u32_e32 v4, v2
	s_branch .LBB17_820
.LBB17_818:
	s_mov_b64 s[36:37], -1
                                        ; implicit-def: $vgpr4
	s_branch .LBB17_823
.LBB17_819:
	s_mov_b64 s[36:37], -1
                                        ; implicit-def: $vgpr4
.LBB17_820:
	s_andn2_b64 vcc, exec, s[36:37]
	s_cbranch_vccnz .LBB17_822
; %bb.821:
	global_load_ushort v2, v[0:1], off
	s_waitcnt vmcnt(0)
	v_cvt_f32_u32_e32 v4, v2
.LBB17_822:
	s_mov_b64 s[36:37], 0
.LBB17_823:
	s_andn2_b64 vcc, exec, s[36:37]
	s_cbranch_vccnz .LBB17_831
; %bb.824:
	global_load_ubyte v2, v[0:1], off
	s_movk_i32 s36, 0x7f
	s_waitcnt vmcnt(0)
	v_cmp_lt_i16_e32 vcc, s36, v2
	s_mov_b64 s[36:37], 0
	s_and_saveexec_b64 s[38:39], vcc
	s_xor_b64 s[38:39], exec, s[38:39]
	s_cbranch_execz .LBB17_845
; %bb.825:
	s_movk_i32 s36, 0x80
	v_cmp_eq_u16_e32 vcc, s36, v2
	s_mov_b64 s[36:37], -1
	s_and_saveexec_b64 s[40:41], vcc
; %bb.826:
	s_xor_b64 s[36:37], exec, -1
; %bb.827:
	s_or_b64 exec, exec, s[40:41]
	s_and_b64 s[36:37], s[36:37], exec
	s_or_saveexec_b64 s[38:39], s[38:39]
	v_mov_b32_e32 v4, 0x7f800001
	s_xor_b64 exec, exec, s[38:39]
	s_cbranch_execnz .LBB17_846
.LBB17_828:
	s_or_b64 exec, exec, s[38:39]
	s_and_saveexec_b64 s[38:39], s[36:37]
	s_cbranch_execz .LBB17_830
.LBB17_829:
	v_lshlrev_b32_e32 v3, 24, v2
	v_and_b32_e32 v2, 0xffff, v2
	v_and_b32_e32 v4, 7, v2
	v_ffbh_u32_e32 v6, v4
	v_min_u32_e32 v6, 32, v6
	v_subrev_u32_e32 v8, 28, v6
	v_bfe_u32 v5, v2, 3, 4
	v_lshlrev_b32_e32 v2, v8, v2
	v_sub_u32_e32 v6, 29, v6
	v_and_b32_e32 v2, 7, v2
	v_cmp_eq_u32_e32 vcc, 0, v5
	v_cndmask_b32_e32 v5, v5, v6, vcc
	v_cndmask_b32_e32 v2, v4, v2, vcc
	v_mov_b32_e32 v4, 0x3b800000
	v_lshlrev_b32_e32 v2, 20, v2
	v_and_b32_e32 v3, 0x80000000, v3
	v_lshl_add_u32 v4, v5, 23, v4
	v_or3_b32 v4, v3, v4, v2
.LBB17_830:
	s_or_b64 exec, exec, s[38:39]
.LBB17_831:
	s_mov_b64 s[36:37], -1
.LBB17_832:
	s_mov_b64 s[38:39], 0
.LBB17_833:
	s_and_b64 vcc, exec, s[38:39]
	s_cbranch_vccz .LBB17_866
; %bb.834:
	s_cmp_gt_i32 s43, 22
	s_cbranch_scc0 .LBB17_844
; %bb.835:
	s_cmp_lt_i32 s43, 24
	s_cbranch_scc1 .LBB17_847
; %bb.836:
	s_cmp_gt_i32 s43, 24
	s_cbranch_scc0 .LBB17_848
; %bb.837:
	global_load_ubyte v2, v[0:1], off
	s_movk_i32 s34, 0x7f
	s_waitcnt vmcnt(0)
	v_cmp_lt_i16_e32 vcc, s34, v2
	s_mov_b64 s[34:35], 0
	s_and_saveexec_b64 s[36:37], vcc
	s_xor_b64 s[36:37], exec, s[36:37]
	s_cbranch_execz .LBB17_860
; %bb.838:
	s_movk_i32 s34, 0x80
	v_cmp_eq_u16_e32 vcc, s34, v2
	s_mov_b64 s[34:35], -1
	s_and_saveexec_b64 s[38:39], vcc
; %bb.839:
	s_xor_b64 s[34:35], exec, -1
; %bb.840:
	s_or_b64 exec, exec, s[38:39]
	s_and_b64 s[34:35], s[34:35], exec
	s_or_saveexec_b64 s[36:37], s[36:37]
	v_mov_b32_e32 v4, 0x7f800001
	s_xor_b64 exec, exec, s[36:37]
	s_cbranch_execnz .LBB17_861
.LBB17_841:
	s_or_b64 exec, exec, s[36:37]
	s_and_saveexec_b64 s[36:37], s[34:35]
	s_cbranch_execz .LBB17_843
.LBB17_842:
	v_lshlrev_b32_e32 v3, 24, v2
	v_and_b32_e32 v2, 0xffff, v2
	v_and_b32_e32 v4, 3, v2
	v_ffbh_u32_e32 v6, v4
	v_min_u32_e32 v6, 32, v6
	v_subrev_u32_e32 v8, 29, v6
	v_bfe_u32 v5, v2, 2, 5
	v_lshlrev_b32_e32 v2, v8, v2
	v_sub_u32_e32 v6, 30, v6
	v_and_b32_e32 v2, 3, v2
	v_cmp_eq_u32_e32 vcc, 0, v5
	v_cndmask_b32_e32 v5, v5, v6, vcc
	v_cndmask_b32_e32 v2, v4, v2, vcc
	v_mov_b32_e32 v4, 0x37800000
	v_lshlrev_b32_e32 v2, 21, v2
	v_and_b32_e32 v3, 0x80000000, v3
	v_lshl_add_u32 v4, v5, 23, v4
	v_or3_b32 v4, v3, v4, v2
.LBB17_843:
	s_or_b64 exec, exec, s[36:37]
	s_mov_b64 s[34:35], 0
	s_branch .LBB17_849
.LBB17_844:
	s_mov_b64 s[34:35], -1
                                        ; implicit-def: $vgpr4
	s_branch .LBB17_855
.LBB17_845:
	s_or_saveexec_b64 s[38:39], s[38:39]
	v_mov_b32_e32 v4, 0x7f800001
	s_xor_b64 exec, exec, s[38:39]
	s_cbranch_execz .LBB17_828
.LBB17_846:
	v_cmp_ne_u16_e32 vcc, 0, v2
	s_andn2_b64 s[36:37], s[36:37], exec
	s_and_b64 s[40:41], vcc, exec
	v_mov_b32_e32 v4, 0
	s_or_b64 s[36:37], s[36:37], s[40:41]
	s_or_b64 exec, exec, s[38:39]
	s_and_saveexec_b64 s[38:39], s[36:37]
	s_cbranch_execnz .LBB17_829
	s_branch .LBB17_830
.LBB17_847:
	s_mov_b64 s[34:35], -1
                                        ; implicit-def: $vgpr4
	s_branch .LBB17_852
.LBB17_848:
	s_mov_b64 s[34:35], -1
                                        ; implicit-def: $vgpr4
.LBB17_849:
	s_and_b64 vcc, exec, s[34:35]
	s_cbranch_vccz .LBB17_851
; %bb.850:
	global_load_ubyte v2, v[0:1], off
	s_mov_b32 s34, 0x7f800000
	s_waitcnt vmcnt(0)
	v_lshlrev_b32_e32 v2, 24, v2
	v_and_b32_e32 v3, 0x7f000000, v2
	v_ffbh_u32_e32 v4, v3
	v_min_u32_e32 v4, 32, v4
	v_sub_u32_e64 v4, v4, 4 clamp
	v_lshlrev_b32_e32 v6, v4, v3
	v_lshlrev_b32_e32 v4, 23, v4
	v_lshrrev_b32_e32 v6, 4, v6
	v_add_u32_e32 v5, 0x1000000, v3
	v_sub_u32_e32 v4, v6, v4
	v_ashrrev_i32_e32 v5, 8, v5
	v_add_u32_e32 v4, 0x3c000000, v4
	v_and_or_b32 v4, v5, s34, v4
	v_cmp_ne_u32_e32 vcc, 0, v3
	v_cndmask_b32_e32 v3, 0, v4, vcc
	s_brev_b32 s34, 1
	v_and_or_b32 v4, v2, s34, v3
.LBB17_851:
	s_mov_b64 s[34:35], 0
.LBB17_852:
	s_andn2_b64 vcc, exec, s[34:35]
	s_cbranch_vccnz .LBB17_854
; %bb.853:
	global_load_ubyte v2, v[0:1], off
	s_movk_i32 s34, 0x7f00
	s_brev_b32 s35, 16
	s_waitcnt vmcnt(0)
	v_lshlrev_b16_e32 v3, 8, v2
	v_lshlrev_b32_e32 v2, 25, v2
	v_lshrrev_b32_e32 v4, 4, v2
	v_and_or_b32 v5, v3, s34, 0.5
	v_or_b32_e32 v4, 0x70000000, v4
	v_add_f32_e32 v5, -0.5, v5
	v_mul_f32_e32 v4, 0x7800000, v4
	v_cmp_gt_u32_e32 vcc, s35, v2
	v_bfe_i32 v3, v3, 0, 16
	v_cndmask_b32_e32 v2, v4, v5, vcc
	s_brev_b32 s34, 1
	v_and_or_b32 v4, v3, s34, v2
.LBB17_854:
	s_mov_b64 s[34:35], 0
	s_mov_b64 s[36:37], -1
.LBB17_855:
	s_andn2_b64 vcc, exec, s[34:35]
	s_mov_b64 s[34:35], 0
	s_cbranch_vccnz .LBB17_866
; %bb.856:
	s_cmp_gt_i32 s43, 14
	s_cbranch_scc0 .LBB17_859
; %bb.857:
	s_cmp_eq_u32 s43, 15
	s_cbranch_scc0 .LBB17_862
; %bb.858:
	global_load_ushort v2, v[0:1], off
	s_mov_b64 s[30:31], 0
	s_mov_b64 s[36:37], -1
	s_waitcnt vmcnt(0)
	v_lshlrev_b32_e32 v4, 16, v2
	s_branch .LBB17_863
.LBB17_859:
	s_mov_b64 s[38:39], -1
                                        ; implicit-def: $vgpr4
	s_branch .LBB17_864
.LBB17_860:
	s_or_saveexec_b64 s[36:37], s[36:37]
	v_mov_b32_e32 v4, 0x7f800001
	s_xor_b64 exec, exec, s[36:37]
	s_cbranch_execz .LBB17_841
.LBB17_861:
	v_cmp_ne_u16_e32 vcc, 0, v2
	s_andn2_b64 s[34:35], s[34:35], exec
	s_and_b64 s[38:39], vcc, exec
	v_mov_b32_e32 v4, 0
	s_or_b64 s[34:35], s[34:35], s[38:39]
	s_or_b64 exec, exec, s[36:37]
	s_and_saveexec_b64 s[36:37], s[34:35]
	s_cbranch_execnz .LBB17_842
	s_branch .LBB17_843
.LBB17_862:
	s_mov_b64 s[30:31], -1
                                        ; implicit-def: $vgpr4
.LBB17_863:
	s_mov_b64 s[38:39], 0
.LBB17_864:
	s_and_b64 vcc, exec, s[38:39]
	s_cbranch_vccz .LBB17_866
; %bb.865:
	s_cmp_lg_u32 s43, 11
	s_cselect_b64 s[38:39], -1, 0
	s_andn2_b64 s[30:31], s[30:31], exec
	s_and_b64 s[38:39], s[38:39], exec
	s_mov_b64 s[34:35], -1
	s_or_b64 s[30:31], s[30:31], s[38:39]
.LBB17_866:
	s_mov_b64 s[38:39], 0
.LBB17_867:
	s_and_b64 s[40:41], s[38:39], exec
	s_andn2_b64 s[38:39], s[0:1], exec
	s_and_b64 s[30:31], s[30:31], exec
	s_and_b64 s[36:37], s[36:37], exec
	;; [unrolled: 1-line block ×3, first 2 shown]
	s_or_b64 s[38:39], s[38:39], s[30:31]
.LBB17_868:
	s_or_b64 exec, exec, s[26:27]
	s_and_b64 s[30:31], s[34:35], exec
	s_andn2_b64 s[0:1], s[0:1], exec
	s_and_b64 s[34:35], s[38:39], exec
	s_and_b64 s[36:37], s[36:37], exec
	;; [unrolled: 1-line block ×3, first 2 shown]
	s_or_b64 s[0:1], s[0:1], s[34:35]
.LBB17_869:
	s_or_b64 exec, exec, s[24:25]
	s_andn2_b64 s[20:21], s[20:21], exec
	s_and_b64 s[24:25], s[28:29], exec
	s_andn2_b64 s[18:19], s[18:19], exec
	s_and_b64 s[0:1], s[0:1], exec
	s_or_b64 s[20:21], s[20:21], s[24:25]
	s_and_b64 s[28:29], s[36:37], exec
	s_and_b64 s[26:27], s[26:27], exec
	;; [unrolled: 1-line block ×3, first 2 shown]
	s_or_b64 s[18:19], s[18:19], s[0:1]
.LBB17_870:
	s_or_b64 exec, exec, s[22:23]
	s_andn2_b64 s[0:1], s[6:7], exec
	s_and_b64 s[6:7], s[20:21], exec
	s_andn2_b64 s[14:15], s[14:15], exec
	s_and_b64 s[18:19], s[18:19], exec
	s_or_b64 s[6:7], s[0:1], s[6:7]
	s_and_b64 s[0:1], s[28:29], exec
	s_and_b64 s[22:23], s[26:27], exec
	s_and_b64 s[20:21], s[24:25], exec
	s_or_b64 s[14:15], s[14:15], s[18:19]
	s_or_b64 exec, exec, s[16:17]
	s_mov_b64 s[16:17], 0
	s_and_saveexec_b64 s[18:19], s[14:15]
	s_cbranch_execz .LBB17_266
.LBB17_871:
	s_mov_b64 s[16:17], exec
	s_andn2_b64 s[20:21], s[20:21], exec
	s_trap 2
	s_or_b64 exec, exec, s[18:19]
	s_and_saveexec_b64 s[14:15], s[20:21]
	s_xor_b64 s[14:15], exec, s[14:15]
	s_cbranch_execnz .LBB17_267
.LBB17_872:
	s_or_b64 exec, exec, s[14:15]
	s_and_saveexec_b64 s[14:15], s[22:23]
	s_cbranch_execz .LBB17_918
.LBB17_873:
	s_sext_i32_i16 s18, s42
	s_cmp_lt_i32 s18, 5
	s_cbranch_scc1 .LBB17_878
; %bb.874:
	s_cmp_lt_i32 s18, 8
	s_cbranch_scc1 .LBB17_879
; %bb.875:
	s_cmp_lt_i32 s18, 9
	s_cbranch_scc1 .LBB17_880
; %bb.876:
	s_cmp_gt_i32 s18, 9
	s_cbranch_scc0 .LBB17_881
; %bb.877:
	global_load_dwordx2 v[2:3], v[0:1], off
	s_mov_b64 s[18:19], 0
	s_waitcnt vmcnt(0)
	v_cvt_f32_f64_e32 v4, v[2:3]
	s_branch .LBB17_882
.LBB17_878:
                                        ; implicit-def: $vgpr4
	s_branch .LBB17_899
.LBB17_879:
                                        ; implicit-def: $vgpr4
	s_branch .LBB17_888
.LBB17_880:
	s_mov_b64 s[18:19], -1
                                        ; implicit-def: $vgpr4
	s_branch .LBB17_885
.LBB17_881:
	s_mov_b64 s[18:19], -1
                                        ; implicit-def: $vgpr4
.LBB17_882:
	s_andn2_b64 vcc, exec, s[18:19]
	s_cbranch_vccnz .LBB17_884
; %bb.883:
	global_load_dword v4, v[0:1], off
.LBB17_884:
	s_mov_b64 s[18:19], 0
.LBB17_885:
	s_andn2_b64 vcc, exec, s[18:19]
	s_cbranch_vccnz .LBB17_887
; %bb.886:
	global_load_dword v2, v[0:1], off
	s_waitcnt vmcnt(0)
	v_cvt_f32_f16_e32 v4, v2
.LBB17_887:
	s_cbranch_execnz .LBB17_898
.LBB17_888:
	s_sext_i32_i16 s18, s42
	s_cmp_lt_i32 s18, 6
	s_cbranch_scc1 .LBB17_891
; %bb.889:
	s_cmp_gt_i32 s18, 6
	s_cbranch_scc0 .LBB17_892
; %bb.890:
	global_load_dwordx2 v[2:3], v[0:1], off
	s_mov_b64 s[18:19], 0
	s_waitcnt vmcnt(0)
	v_cvt_f32_f64_e32 v4, v[2:3]
	s_branch .LBB17_893
.LBB17_891:
	s_mov_b64 s[18:19], -1
                                        ; implicit-def: $vgpr4
	s_branch .LBB17_896
.LBB17_892:
	s_mov_b64 s[18:19], -1
                                        ; implicit-def: $vgpr4
.LBB17_893:
	s_andn2_b64 vcc, exec, s[18:19]
	s_cbranch_vccnz .LBB17_895
; %bb.894:
	global_load_dword v4, v[0:1], off
.LBB17_895:
	s_mov_b64 s[18:19], 0
.LBB17_896:
	s_andn2_b64 vcc, exec, s[18:19]
	s_cbranch_vccnz .LBB17_898
; %bb.897:
	global_load_ushort v2, v[0:1], off
	s_waitcnt vmcnt(0)
	v_cvt_f32_f16_e32 v4, v2
.LBB17_898:
	s_cbranch_execnz .LBB17_917
.LBB17_899:
	s_sext_i32_i16 s18, s42
	s_cmp_lt_i32 s18, 2
	s_cbranch_scc1 .LBB17_903
; %bb.900:
	s_cmp_lt_i32 s18, 3
	s_cbranch_scc1 .LBB17_904
; %bb.901:
	s_cmp_gt_i32 s18, 3
	s_cbranch_scc0 .LBB17_905
; %bb.902:
	global_load_dwordx2 v[2:3], v[0:1], off
	s_mov_b64 s[18:19], 0
	s_waitcnt vmcnt(0)
	v_xor_b32_e32 v5, v2, v3
	v_ffbh_i32_e32 v4, v3
	v_ashrrev_i32_e32 v5, 31, v5
	v_add_u32_e32 v4, -1, v4
	v_add_u32_e32 v5, 32, v5
	v_min_u32_e32 v4, v4, v5
	v_lshlrev_b64 v[2:3], v4, v[2:3]
	v_min_u32_e32 v2, 1, v2
	v_or_b32_e32 v2, v3, v2
	v_cvt_f32_i32_e32 v2, v2
	v_sub_u32_e32 v3, 32, v4
	v_ldexp_f32 v4, v2, v3
	s_branch .LBB17_906
.LBB17_903:
                                        ; implicit-def: $vgpr4
	s_branch .LBB17_912
.LBB17_904:
	s_mov_b64 s[18:19], -1
                                        ; implicit-def: $vgpr4
	s_branch .LBB17_909
.LBB17_905:
	s_mov_b64 s[18:19], -1
                                        ; implicit-def: $vgpr4
.LBB17_906:
	s_andn2_b64 vcc, exec, s[18:19]
	s_cbranch_vccnz .LBB17_908
; %bb.907:
	global_load_dword v2, v[0:1], off
	s_waitcnt vmcnt(0)
	v_cvt_f32_i32_e32 v4, v2
.LBB17_908:
	s_mov_b64 s[18:19], 0
.LBB17_909:
	s_andn2_b64 vcc, exec, s[18:19]
	s_cbranch_vccnz .LBB17_911
; %bb.910:
	global_load_sshort v2, v[0:1], off
	s_waitcnt vmcnt(0)
	v_cvt_f32_i32_e32 v4, v2
.LBB17_911:
	s_cbranch_execnz .LBB17_917
.LBB17_912:
	s_sext_i32_i16 s18, s42
	s_cmp_gt_i32 s18, 0
	s_cbranch_scc0 .LBB17_914
; %bb.913:
	global_load_sbyte v2, v[0:1], off
	s_mov_b64 s[18:19], 0
	s_waitcnt vmcnt(0)
	v_cvt_f32_i32_e32 v4, v2
	s_branch .LBB17_915
.LBB17_914:
	s_mov_b64 s[18:19], -1
                                        ; implicit-def: $vgpr4
.LBB17_915:
	s_andn2_b64 vcc, exec, s[18:19]
	s_cbranch_vccnz .LBB17_917
; %bb.916:
	global_load_ubyte v0, v[0:1], off
	s_waitcnt vmcnt(0)
	v_cvt_f32_ubyte0_e32 v4, v0
.LBB17_917:
	s_or_b64 s[0:1], s[0:1], exec
.LBB17_918:
	s_or_b64 exec, exec, s[14:15]
	s_mov_b64 s[20:21], 0
	s_mov_b64 s[18:19], 0
                                        ; implicit-def: $sgpr26
                                        ; implicit-def: $vgpr2_vgpr3
                                        ; implicit-def: $vgpr0
	s_and_saveexec_b64 s[14:15], s[0:1]
	s_cbranch_execz .LBB17_940
; %bb.919:
	s_mov_b32 s0, 0x41000000
	s_waitcnt vmcnt(0)
	v_cmp_le_f32_e64 s[0:1], |v4|, s0
                                        ; implicit-def: $vgpr0
	s_and_saveexec_b64 s[18:19], s[0:1]
	s_xor_b64 s[0:1], exec, s[18:19]
	s_cbranch_execz .LBB17_921
; %bb.920:
	v_fma_f32 v0, |v4|, 0.5, -2.0
	v_mov_b32_e32 v1, 0x24199b15
	v_fmac_f32_e32 v1, 0xa2a2e5b9, v0
	v_mov_b32_e32 v2, 0x22a2e5b9
	v_fmac_f32_e32 v2, v0, v1
	v_add_f32_e32 v2, 0xa58c275c, v2
	v_fma_f32 v1, v0, v2, -v1
	v_add_f32_e32 v1, 0x26f736c5, v1
	v_fma_f32 v2, v0, v1, -v2
	;; [unrolled: 2-line block ×22, first 2 shown]
	v_add_f32_e32 v2, 0xbcc274f8, v2
	s_mov_b32 s18, 0x3fb8aa3b
	v_fma_f32 v1, v0, v2, -v1
	v_mul_f32_e64 v3, |v4|, s18
	v_add_f32_e32 v1, 0x3d49f456, v1
	v_rndne_f32_e32 v5, v3
	v_fma_f32 v2, v0, v1, -v2
	v_sub_f32_e32 v6, v3, v5
	v_fma_f32 v3, |v4|, s18, -v3
	s_mov_b32 s18, 0x32a5705f
	v_add_f32_e32 v2, 0xbdc25b82, v2
	v_fma_f32 v3, |v4|, s18, v3
	v_fma_f32 v1, v0, v2, -v1
	v_add_f32_e32 v3, v6, v3
	v_add_f32_e32 v1, 0x3e2fbd64, v1
	v_exp_f32_e32 v3, v3
	v_cvt_i32_f32_e32 v5, v5
	v_fma_f32 v2, v0, v1, -v2
	v_add_f32_e32 v2, 0xbe9bff5e, v2
	v_fma_f32 v0, v0, v2, -v1
	s_mov_b32 s18, 0xc2ce8ed0
	v_add_f32_e32 v0, 0x3f2d4275, v0
	v_ldexp_f32 v2, v3, v5
	v_cmp_nlt_f32_e64 vcc, |v4|, s18
	s_mov_b32 s18, 0x42b17218
	v_cndmask_b32_e32 v2, 0, v2, vcc
	v_mov_b32_e32 v3, 0x7f800000
	v_cmp_ngt_f32_e64 vcc, |v4|, s18
	v_sub_f32_e32 v0, v0, v1
	v_cndmask_b32_e32 v2, v3, v2, vcc
	v_mul_f32_e32 v0, 0.5, v0
	v_mul_f32_e32 v0, v2, v0
                                        ; implicit-def: $vgpr4
.LBB17_921:
	s_andn2_saveexec_b64 s[18:19], s[0:1]
	s_cbranch_execz .LBB17_923
; %bb.922:
	v_and_b32_e32 v0, 0x7fffffff, v4
	s_mov_b32 s20, 0x42000000
	v_div_scale_f32 v1, s[0:1], v0, v0, s20
	v_div_scale_f32 v0, vcc, s20, v0, s20
	v_mov_b32_e32 v2, 0xa2b236d3
	v_mov_b32_e32 v3, 0x23056dbb
	s_mov_b32 s0, 0x3fb8aa3b
	v_mul_f32_e64 v5, |v4|, s0
	s_mov_b32 s1, 0x32a5705f
	s_mov_b32 s23, 0xf800000
	;; [unrolled: 1-line block ×3, first 2 shown]
	v_rndne_f32_e32 v9, v5
	v_fma_f32 v10, |v4|, s0, -v5
	v_mul_f32_e64 v8, |v4|, s24
	v_sub_f32_e32 v5, v5, v9
	s_mov_b32 s21, 0xc2ce8ed0
	v_rcp_f32_e32 v6, v1
	s_mov_b32 s22, 0x42b17218
	v_fma_f32 v11, -v1, v6, 1.0
	v_fmac_f32_e32 v6, v11, v6
	v_mul_f32_e32 v11, v0, v6
	v_fma_f32 v12, -v1, v11, v0
	v_fmac_f32_e32 v11, v12, v6
	v_fma_f32 v0, -v1, v11, v0
	v_div_fmas_f32 v0, v0, v6, v11
	v_cmp_lt_f32_e64 vcc, |v4|, s23
	v_fma_f32 v6, |v4|, s1, v10
	v_cndmask_b32_e64 v1, |v4|, v8, vcc
	v_add_f32_e32 v5, v5, v6
	v_cvt_i32_f32_e32 v8, v9
	v_sqrt_f32_e32 v9, v1
	v_exp_f32_e32 v5, v5
	v_cmp_nlt_f32_e64 s[0:1], |v4|, s21
	v_mov_b32_e32 v6, 0x7f800000
	v_add_u32_e32 v10, -1, v9
	v_ldexp_f32 v5, v5, v8
	v_fma_f32 v11, -v10, v9, v1
	v_cndmask_b32_e64 v5, 0, v5, s[0:1]
	v_cmp_ngt_f32_e64 s[0:1], |v4|, s22
	v_cndmask_b32_e64 v5, v6, v5, s[0:1]
	v_div_fixup_f32 v0, v0, |v4|, s20
	v_add_f32_e32 v0, -2.0, v0
	v_fmac_f32_e32 v2, 0xa3056dbb, v0
	v_fmac_f32_e32 v3, v0, v2
	v_add_f32_e32 v3, 0x244df0c1, v3
	v_fma_f32 v2, v0, v3, -v2
	v_add_f32_e32 v2, 0x241f9ee8, v2
	v_fma_f32 v3, v0, v2, -v3
	;; [unrolled: 2-line block ×22, first 2 shown]
	v_add_f32_e32 v0, 0x3f4df315, v0
	v_sub_f32_e32 v0, v0, v3
	v_add_u32_e32 v3, 1, v9
	v_cmp_ge_f32_e64 s[0:1], 0, v11
	v_fma_f32 v4, -v3, v9, v1
	v_cndmask_b32_e64 v2, v9, v10, s[0:1]
	v_cmp_lt_f32_e64 s[0:1], 0, v4
	v_cndmask_b32_e64 v2, v2, v3, s[0:1]
	v_mul_f32_e32 v3, 0x37800000, v2
	v_cndmask_b32_e32 v2, v2, v3, vcc
	v_mov_b32_e32 v3, 0x260
	v_mul_f32_e32 v0, 0.5, v0
	v_cmp_class_f32_e32 vcc, v1, v3
	v_mul_f32_e32 v0, v5, v0
	v_cndmask_b32_e32 v1, v2, v1, vcc
	v_div_scale_f32 v2, s[0:1], v1, v1, v0
	v_div_scale_f32 v3, vcc, v0, v1, v0
	v_rcp_f32_e32 v4, v2
	v_fma_f32 v5, -v2, v4, 1.0
	v_fmac_f32_e32 v4, v5, v4
	v_mul_f32_e32 v5, v3, v4
	v_fma_f32 v6, -v2, v5, v3
	v_fmac_f32_e32 v5, v6, v4
	v_fma_f32 v2, -v2, v5, v3
	v_div_fmas_f32 v2, v2, v4, v5
	v_div_fixup_f32 v0, v2, v1, v0
.LBB17_923:
	s_or_b64 exec, exec, s[18:19]
	v_mul_lo_u32 v1, v7, s2
	v_mov_b32_e32 v3, s9
	s_and_b32 s26, s33, 0xff
	s_cmp_lt_i32 s26, 11
	v_ashrrev_i32_e32 v4, 31, v1
	v_add_co_u32_e32 v2, vcc, s8, v1
	v_addc_co_u32_e32 v3, vcc, v3, v4, vcc
	s_cbranch_scc1 .LBB17_943
; %bb.924:
	s_and_b32 s27, 0xffff, s26
	s_mov_b64 s[20:21], -1
	s_cmp_gt_i32 s27, 25
	s_mov_b64 s[0:1], s[6:7]
	s_cbranch_scc0 .LBB17_961
; %bb.925:
	s_mov_b64 s[18:19], -1
	s_cmp_gt_i32 s27, 28
	s_mov_b64 s[0:1], s[6:7]
	s_cbranch_scc0 .LBB17_945
; %bb.926:
	s_cmp_gt_i32 s27, 43
	s_mov_b64 s[0:1], s[6:7]
	s_cbranch_scc0 .LBB17_937
; %bb.927:
	;; [unrolled: 4-line block ×3, first 2 shown]
	s_cmp_eq_u32 s27, 46
	s_mov_b64 s[0:1], -1
	s_cbranch_scc0 .LBB17_930
; %bb.929:
	v_bfe_u32 v1, v0, 16, 1
	s_movk_i32 s0, 0x7fff
	v_add3_u32 v1, v0, v1, s0
	v_cmp_o_f32_e32 vcc, v0, v0
	v_mov_b32_e32 v4, 0x7fc0
	v_cndmask_b32_sdwa v1, v4, v1, vcc dst_sel:DWORD dst_unused:UNUSED_PAD src0_sel:DWORD src1_sel:WORD_1
	global_store_dword v[2:3], v1, off
	s_mov_b64 s[0:1], 0
.LBB17_930:
	s_mov_b64 s[18:19], 0
.LBB17_931:
	s_and_b64 vcc, exec, s[18:19]
	s_cbranch_vccz .LBB17_936
; %bb.932:
	s_cmp_eq_u32 s27, 44
	s_mov_b64 s[0:1], -1
	s_cbranch_scc0 .LBB17_936
; %bb.933:
	v_bfe_u32 v1, v0, 23, 8
	s_movk_i32 s0, 0xff
	v_cmp_ne_u32_e32 vcc, s0, v1
	v_mov_b32_e32 v4, 0xff
	s_and_saveexec_b64 s[18:19], vcc
; %bb.934:
	s_mov_b32 s0, 0x3fffff
	v_and_b32_e32 v5, 0x400000, v0
	v_and_or_b32 v1, v0, s0, v1
	v_cmp_ne_u32_e32 vcc, 0, v5
	v_cmp_ne_u32_e64 s[0:1], 0, v1
	s_and_b64 s[0:1], vcc, s[0:1]
	v_lshrrev_b32_e32 v4, 23, v0
	v_cndmask_b32_e64 v1, 0, 1, s[0:1]
	v_add_u32_e32 v4, v4, v1
; %bb.935:
	s_or_b64 exec, exec, s[18:19]
	s_mov_b64 s[0:1], 0
	global_store_byte v[2:3], v4, off
.LBB17_936:
	s_mov_b64 s[18:19], 0
.LBB17_937:
	s_and_b64 vcc, exec, s[18:19]
	s_cbranch_vccz .LBB17_944
; %bb.938:
	s_cmp_eq_u32 s27, 29
	s_mov_b64 s[0:1], -1
	s_cbranch_scc0 .LBB17_944
; %bb.939:
	v_trunc_f32_e32 v1, v0
	v_mul_f32_e32 v4, 0x2f800000, v1
	v_floor_f32_e32 v4, v4
	v_fmac_f32_e32 v1, 0xcf800000, v4
	v_cvt_u32_f32_e32 v5, v4
	v_cvt_u32_f32_e32 v4, v1
	s_mov_b64 s[0:1], 0
	s_mov_b64 s[18:19], 0
	global_store_dwordx2 v[2:3], v[4:5], off
	s_branch .LBB17_945
.LBB17_940:
	s_or_b64 exec, exec, s[14:15]
	s_and_saveexec_b64 s[0:1], s[6:7]
	s_cbranch_execnz .LBB17_1003
.LBB17_941:
	s_or_b64 exec, exec, s[0:1]
	s_and_saveexec_b64 s[0:1], s[20:21]
	s_xor_b64 s[0:1], exec, s[0:1]
	s_cbranch_execz .LBB17_1004
.LBB17_942:
	v_cmp_neq_f32_e32 vcc, 0, v0
	v_cndmask_b32_e64 v1, 0, 1, vcc
	s_waitcnt vmcnt(0)
	global_store_byte v[2:3], v1, off
	s_or_b64 exec, exec, s[0:1]
	s_and_saveexec_b64 s[0:1], s[18:19]
	s_xor_b64 s[0:1], exec, s[0:1]
	s_cbranch_execz .LBB17_1042
	s_branch .LBB17_1005
.LBB17_943:
	s_mov_b64 s[20:21], 0
	s_mov_b64 s[18:19], -1
	s_mov_b64 s[0:1], s[6:7]
	s_branch .LBB17_1002
.LBB17_944:
	s_mov_b64 s[18:19], 0
.LBB17_945:
	s_and_b64 vcc, exec, s[18:19]
	s_cbranch_vccz .LBB17_960
; %bb.946:
	s_cmp_lt_i32 s27, 27
	s_mov_b64 s[18:19], -1
	s_cbranch_scc1 .LBB17_952
; %bb.947:
	v_cvt_u32_f32_e32 v1, v0
	s_cmp_gt_i32 s27, 27
	s_cbranch_scc0 .LBB17_949
; %bb.948:
	s_mov_b64 s[18:19], 0
	global_store_dword v[2:3], v1, off
.LBB17_949:
	s_andn2_b64 vcc, exec, s[18:19]
	s_cbranch_vccnz .LBB17_951
; %bb.950:
	global_store_short v[2:3], v1, off
.LBB17_951:
	s_mov_b64 s[18:19], 0
.LBB17_952:
	s_andn2_b64 vcc, exec, s[18:19]
	s_cbranch_vccnz .LBB17_960
; %bb.953:
	v_and_b32_e32 v1, 0x7fffffff, v0
	s_mov_b32 s18, 0x43800000
	v_cmp_gt_u32_e32 vcc, s18, v1
	v_mov_b32_e32 v4, 0x80
	s_and_saveexec_b64 s[18:19], vcc
	s_cbranch_execz .LBB17_959
; %bb.954:
	s_mov_b32 s20, 0x3bffffff
	v_cmp_lt_u32_e32 vcc, s20, v1
	s_mov_b64 s[20:21], 0
                                        ; implicit-def: $vgpr1
	s_and_saveexec_b64 s[22:23], vcc
	s_xor_b64 s[22:23], exec, s[22:23]
	s_cbranch_execz .LBB17_1057
; %bb.955:
	v_bfe_u32 v1, v0, 20, 1
	s_mov_b32 s24, 0x487ffff
	v_add3_u32 v1, v0, v1, s24
	s_mov_b64 s[20:21], exec
	v_lshrrev_b32_e32 v1, 20, v1
	s_andn2_saveexec_b64 s[22:23], s[22:23]
	s_cbranch_execnz .LBB17_1058
.LBB17_956:
	s_or_b64 exec, exec, s[22:23]
	v_mov_b32_e32 v4, 0
	s_and_saveexec_b64 s[22:23], s[20:21]
.LBB17_957:
	v_lshrrev_b32_e32 v4, 24, v0
	s_movk_i32 s20, 0x80
	v_and_or_b32 v4, v4, s20, v1
.LBB17_958:
	s_or_b64 exec, exec, s[22:23]
.LBB17_959:
	s_or_b64 exec, exec, s[18:19]
	global_store_byte v[2:3], v4, off
.LBB17_960:
	s_mov_b64 s[20:21], 0
.LBB17_961:
	s_mov_b64 s[18:19], 0
	s_and_b64 vcc, exec, s[20:21]
	s_cbranch_vccz .LBB17_1001
; %bb.962:
	s_cmp_gt_i32 s27, 22
	s_mov_b64 s[20:21], -1
	s_cbranch_scc0 .LBB17_994
; %bb.963:
	s_cmp_lt_i32 s27, 24
	s_cbranch_scc1 .LBB17_983
; %bb.964:
	s_cmp_gt_i32 s27, 24
	s_cbranch_scc0 .LBB17_972
; %bb.965:
	v_and_b32_e32 v1, 0x7fffffff, v0
	s_mov_b32 s20, 0x47800000
	v_cmp_gt_u32_e32 vcc, s20, v1
	v_mov_b32_e32 v4, 0x80
	s_and_saveexec_b64 s[20:21], vcc
	s_cbranch_execz .LBB17_971
; %bb.966:
	s_mov_b32 s22, 0x37ffffff
	v_cmp_lt_u32_e32 vcc, s22, v1
	s_mov_b64 s[22:23], 0
                                        ; implicit-def: $vgpr1
	s_and_saveexec_b64 s[24:25], vcc
	s_xor_b64 s[24:25], exec, s[24:25]
	s_cbranch_execz .LBB17_1186
; %bb.967:
	v_bfe_u32 v1, v0, 21, 1
	s_mov_b32 s28, 0x88fffff
	v_add3_u32 v1, v0, v1, s28
	s_mov_b64 s[22:23], exec
	v_lshrrev_b32_e32 v1, 21, v1
	s_andn2_saveexec_b64 s[24:25], s[24:25]
	s_cbranch_execnz .LBB17_1187
.LBB17_968:
	s_or_b64 exec, exec, s[24:25]
	v_mov_b32_e32 v4, 0
	s_and_saveexec_b64 s[24:25], s[22:23]
.LBB17_969:
	v_lshrrev_b32_e32 v4, 24, v0
	s_movk_i32 s22, 0x80
	v_and_or_b32 v4, v4, s22, v1
.LBB17_970:
	s_or_b64 exec, exec, s[24:25]
.LBB17_971:
	s_or_b64 exec, exec, s[20:21]
	s_mov_b64 s[20:21], 0
	global_store_byte v[2:3], v4, off
.LBB17_972:
	s_and_b64 vcc, exec, s[20:21]
	s_cbranch_vccz .LBB17_982
; %bb.973:
	v_and_b32_e32 v4, 0x7fffffff, v0
	s_mov_b32 s20, 0x43f00000
	v_cmp_gt_u32_e32 vcc, s20, v4
                                        ; implicit-def: $vgpr1
	s_and_saveexec_b64 s[20:21], vcc
	s_xor_b64 s[20:21], exec, s[20:21]
	s_cbranch_execz .LBB17_979
; %bb.974:
	s_mov_b32 s22, 0x3c7fffff
	v_cmp_lt_u32_e32 vcc, s22, v4
                                        ; implicit-def: $vgpr1
	s_and_saveexec_b64 s[22:23], vcc
	s_xor_b64 s[22:23], exec, s[22:23]
; %bb.975:
	v_bfe_u32 v1, v0, 20, 1
	s_mov_b32 s24, 0x407ffff
	v_add3_u32 v1, v0, v1, s24
	v_lshrrev_b32_e32 v4, 20, v1
	v_and_b32_e32 v1, 0xff00000, v1
	s_mov_b32 s24, 0x7f00000
	v_mov_b32_e32 v5, 0x7e
	v_cmp_ne_u32_e32 vcc, s24, v1
	v_cndmask_b32_e32 v1, v5, v4, vcc
; %bb.976:
	s_andn2_saveexec_b64 s[22:23], s[22:23]
; %bb.977:
	s_mov_b32 s24, 0x46800000
	v_add_f32_e64 v1, |v0|, s24
; %bb.978:
	s_or_b64 exec, exec, s[22:23]
                                        ; implicit-def: $vgpr4
.LBB17_979:
	s_andn2_saveexec_b64 s[20:21], s[20:21]
; %bb.980:
	s_mov_b32 s22, 0x7f800000
	v_mov_b32_e32 v1, 0x7e
	v_mov_b32_e32 v5, 0x7f
	v_cmp_lt_u32_e32 vcc, s22, v4
	v_cndmask_b32_e32 v1, v1, v5, vcc
; %bb.981:
	s_or_b64 exec, exec, s[20:21]
	v_lshrrev_b32_e32 v4, 24, v0
	s_movk_i32 s20, 0x80
	v_and_or_b32 v1, v4, s20, v1
	global_store_byte v[2:3], v1, off
.LBB17_982:
	s_mov_b64 s[20:21], 0
.LBB17_983:
	s_andn2_b64 vcc, exec, s[20:21]
	s_cbranch_vccnz .LBB17_993
; %bb.984:
	v_and_b32_e32 v4, 0x7fffffff, v0
	s_mov_b32 s20, 0x47800000
	v_cmp_gt_u32_e32 vcc, s20, v4
                                        ; implicit-def: $vgpr1
	s_and_saveexec_b64 s[20:21], vcc
	s_xor_b64 s[20:21], exec, s[20:21]
	s_cbranch_execz .LBB17_990
; %bb.985:
	s_mov_b32 s22, 0x387fffff
	v_cmp_lt_u32_e32 vcc, s22, v4
                                        ; implicit-def: $vgpr1
	s_and_saveexec_b64 s[22:23], vcc
	s_xor_b64 s[22:23], exec, s[22:23]
; %bb.986:
	v_bfe_u32 v1, v0, 21, 1
	s_mov_b32 s24, 0x80fffff
	v_add3_u32 v1, v0, v1, s24
	v_lshrrev_b32_e32 v1, 21, v1
; %bb.987:
	s_andn2_saveexec_b64 s[22:23], s[22:23]
; %bb.988:
	s_mov_b32 s24, 0x43000000
	v_add_f32_e64 v1, |v0|, s24
; %bb.989:
	s_or_b64 exec, exec, s[22:23]
                                        ; implicit-def: $vgpr4
.LBB17_990:
	s_andn2_saveexec_b64 s[20:21], s[20:21]
; %bb.991:
	s_mov_b32 s22, 0x7f800000
	v_mov_b32_e32 v1, 0x7c
	v_mov_b32_e32 v5, 0x7f
	v_cmp_lt_u32_e32 vcc, s22, v4
	v_cndmask_b32_e32 v1, v1, v5, vcc
; %bb.992:
	s_or_b64 exec, exec, s[20:21]
	v_lshrrev_b32_e32 v4, 24, v0
	s_movk_i32 s20, 0x80
	v_and_or_b32 v1, v4, s20, v1
	global_store_byte v[2:3], v1, off
.LBB17_993:
	s_mov_b64 s[20:21], 0
.LBB17_994:
	s_andn2_b64 vcc, exec, s[20:21]
	s_mov_b64 s[20:21], 0
	s_cbranch_vccnz .LBB17_1002
; %bb.995:
	s_cmp_gt_i32 s27, 14
	s_mov_b64 s[22:23], -1
	s_cbranch_scc0 .LBB17_999
; %bb.996:
	s_cmp_eq_u32 s27, 15
	s_mov_b64 s[0:1], -1
	s_cbranch_scc0 .LBB17_998
; %bb.997:
	v_bfe_u32 v1, v0, 16, 1
	s_movk_i32 s0, 0x7fff
	v_add3_u32 v1, v0, v1, s0
	v_cmp_o_f32_e32 vcc, v0, v0
	v_mov_b32_e32 v4, 0x7fc0
	v_cndmask_b32_sdwa v1, v4, v1, vcc dst_sel:DWORD dst_unused:UNUSED_PAD src0_sel:DWORD src1_sel:WORD_1
	global_store_short v[2:3], v1, off
	s_mov_b64 s[0:1], 0
.LBB17_998:
	s_mov_b64 s[22:23], 0
.LBB17_999:
	s_and_b64 vcc, exec, s[22:23]
	s_cbranch_vccz .LBB17_1002
; %bb.1000:
	s_cmp_lg_u32 s27, 11
	s_cselect_b64 s[22:23], -1, 0
	s_andn2_b64 s[0:1], s[0:1], exec
	s_and_b64 s[22:23], s[22:23], exec
	s_mov_b64 s[20:21], -1
	s_or_b64 s[0:1], s[0:1], s[22:23]
	s_branch .LBB17_1002
.LBB17_1001:
	s_mov_b64 s[20:21], 0
.LBB17_1002:
	s_andn2_b64 s[6:7], s[6:7], exec
	s_and_b64 s[0:1], s[0:1], exec
	s_and_b64 s[18:19], s[18:19], exec
	;; [unrolled: 1-line block ×3, first 2 shown]
	s_or_b64 s[6:7], s[6:7], s[0:1]
	s_or_b64 exec, exec, s[14:15]
	s_and_saveexec_b64 s[0:1], s[6:7]
	s_cbranch_execz .LBB17_941
.LBB17_1003:
	s_or_b64 s[16:17], s[16:17], exec
	s_andn2_b64 s[20:21], s[20:21], exec
	s_trap 2
	s_or_b64 exec, exec, s[0:1]
	s_and_saveexec_b64 s[0:1], s[20:21]
	s_xor_b64 s[0:1], exec, s[0:1]
	s_cbranch_execnz .LBB17_942
.LBB17_1004:
	s_or_b64 exec, exec, s[0:1]
	s_and_saveexec_b64 s[0:1], s[18:19]
	s_xor_b64 s[0:1], exec, s[0:1]
	s_cbranch_execz .LBB17_1042
.LBB17_1005:
	s_sext_i32_i16 s14, s26
	s_cmp_lt_i32 s14, 5
	s_mov_b64 s[6:7], -1
	s_cbranch_scc1 .LBB17_1026
; %bb.1006:
	s_cmp_lt_i32 s14, 8
	s_cbranch_scc1 .LBB17_1016
; %bb.1007:
	s_cmp_lt_i32 s14, 9
	s_cbranch_scc1 .LBB17_1013
; %bb.1008:
	s_cmp_gt_i32 s14, 9
	s_cbranch_scc0 .LBB17_1010
; %bb.1009:
	s_waitcnt vmcnt(0)
	v_cvt_f64_f32_e32 v[4:5], v0
	v_mov_b32_e32 v6, 0
	v_mov_b32_e32 v7, v6
	s_mov_b64 s[6:7], 0
	global_store_dwordx4 v[2:3], v[4:7], off
.LBB17_1010:
	s_andn2_b64 vcc, exec, s[6:7]
	s_cbranch_vccnz .LBB17_1012
; %bb.1011:
	v_mov_b32_e32 v1, 0
	s_waitcnt vmcnt(0)
	global_store_dwordx2 v[2:3], v[0:1], off
.LBB17_1012:
	s_mov_b64 s[6:7], 0
.LBB17_1013:
	s_andn2_b64 vcc, exec, s[6:7]
	s_cbranch_vccnz .LBB17_1015
; %bb.1014:
	v_cvt_f16_f32_e32 v1, v0
	s_waitcnt vmcnt(0)
	global_store_dword v[2:3], v1, off
.LBB17_1015:
	s_mov_b64 s[6:7], 0
.LBB17_1016:
	s_andn2_b64 vcc, exec, s[6:7]
	s_cbranch_vccnz .LBB17_1025
; %bb.1017:
	s_sext_i32_i16 s14, s26
	s_cmp_lt_i32 s14, 6
	s_mov_b64 s[6:7], -1
	s_cbranch_scc1 .LBB17_1023
; %bb.1018:
	s_cmp_gt_i32 s14, 6
	s_cbranch_scc0 .LBB17_1020
; %bb.1019:
	s_waitcnt vmcnt(0)
	v_cvt_f64_f32_e32 v[4:5], v0
	s_mov_b64 s[6:7], 0
	global_store_dwordx2 v[2:3], v[4:5], off
.LBB17_1020:
	s_andn2_b64 vcc, exec, s[6:7]
	s_cbranch_vccnz .LBB17_1022
; %bb.1021:
	s_waitcnt vmcnt(0)
	global_store_dword v[2:3], v0, off
.LBB17_1022:
	s_mov_b64 s[6:7], 0
.LBB17_1023:
	s_andn2_b64 vcc, exec, s[6:7]
	s_cbranch_vccnz .LBB17_1025
; %bb.1024:
	v_cvt_f16_f32_e32 v1, v0
	s_waitcnt vmcnt(0)
	global_store_short v[2:3], v1, off
.LBB17_1025:
	s_mov_b64 s[6:7], 0
.LBB17_1026:
	s_andn2_b64 vcc, exec, s[6:7]
	s_cbranch_vccnz .LBB17_1042
; %bb.1027:
	s_sext_i32_i16 s14, s26
	s_cmp_lt_i32 s14, 2
	s_mov_b64 s[6:7], -1
	s_cbranch_scc1 .LBB17_1037
; %bb.1028:
	s_cmp_lt_i32 s14, 3
	s_cbranch_scc1 .LBB17_1034
; %bb.1029:
	s_cmp_gt_i32 s14, 3
	s_cbranch_scc0 .LBB17_1031
; %bb.1030:
	v_trunc_f32_e32 v1, v0
	s_mov_b32 s6, 0x2f800000
	s_waitcnt vmcnt(0)
	v_mul_f32_e64 v4, |v1|, s6
	v_floor_f32_e32 v4, v4
	s_mov_b32 s6, 0xcf800000
	v_cvt_u32_f32_e32 v5, v4
	v_fma_f32 v4, v4, s6, |v1|
	v_cvt_u32_f32_e32 v4, v4
	v_ashrrev_i32_e32 v1, 31, v1
	v_xor_b32_e32 v5, v5, v1
	s_mov_b64 s[6:7], 0
	v_xor_b32_e32 v4, v4, v1
	v_sub_co_u32_e32 v4, vcc, v4, v1
	v_subb_co_u32_e32 v5, vcc, v5, v1, vcc
	global_store_dwordx2 v[2:3], v[4:5], off
.LBB17_1031:
	s_andn2_b64 vcc, exec, s[6:7]
	s_cbranch_vccnz .LBB17_1033
; %bb.1032:
	v_cvt_i32_f32_e32 v1, v0
	s_waitcnt vmcnt(0)
	global_store_dword v[2:3], v1, off
.LBB17_1033:
	s_mov_b64 s[6:7], 0
.LBB17_1034:
	s_andn2_b64 vcc, exec, s[6:7]
	s_cbranch_vccnz .LBB17_1036
; %bb.1035:
	v_cvt_i32_f32_e32 v1, v0
	s_waitcnt vmcnt(0)
	global_store_short v[2:3], v1, off
.LBB17_1036:
	s_mov_b64 s[6:7], 0
.LBB17_1037:
	s_andn2_b64 vcc, exec, s[6:7]
	s_cbranch_vccnz .LBB17_1042
; %bb.1038:
	s_sext_i32_i16 s6, s26
	s_cmp_gt_i32 s6, 0
	s_mov_b64 s[6:7], -1
	s_cbranch_scc0 .LBB17_1040
; %bb.1039:
	v_cvt_i32_f32_e32 v1, v0
	s_mov_b64 s[6:7], 0
	s_waitcnt vmcnt(0)
	global_store_byte v[2:3], v1, off
.LBB17_1040:
	s_andn2_b64 vcc, exec, s[6:7]
	s_cbranch_vccnz .LBB17_1042
; %bb.1041:
	v_trunc_f32_e32 v0, v0
	s_mov_b32 s6, 0x2f800000
	v_mul_f32_e64 v1, |v0|, s6
	v_floor_f32_e32 v1, v1
	s_mov_b32 s6, 0xcf800000
	v_fma_f32 v1, v1, s6, |v0|
	v_cvt_u32_f32_e32 v1, v1
	v_ashrrev_i32_e32 v0, 31, v0
	v_xor_b32_e32 v1, v1, v0
	v_sub_u32_e32 v0, v1, v0
	s_waitcnt vmcnt(0)
	global_store_byte v[2:3], v0, off
.LBB17_1042:
	s_or_b64 exec, exec, s[0:1]
	s_and_b64 s[6:7], s[16:17], exec
                                        ; implicit-def: $vgpr7
.LBB17_1043:
	s_or_saveexec_b64 s[4:5], s[4:5]
	s_mov_b64 s[0:1], 0
                                        ; implicit-def: $sgpr20
                                        ; implicit-def: $vgpr0_vgpr1
                                        ; implicit-def: $vgpr6
	s_xor_b64 exec, exec, s[4:5]
	s_cbranch_execz .LBB17_1653
; %bb.1044:
	s_waitcnt vmcnt(0)
	v_mul_lo_u32 v2, s3, v7
	v_mov_b32_e32 v1, s11
	s_and_b32 s22, 0xffff, s42
	s_cmp_lt_i32 s22, 11
	v_ashrrev_i32_e32 v3, 31, v2
	v_add_co_u32_e32 v0, vcc, s10, v2
	v_addc_co_u32_e32 v1, vcc, v1, v3, vcc
	s_cbranch_scc1 .LBB17_1051
; %bb.1045:
	s_cmp_gt_i32 s22, 25
	s_cbranch_scc0 .LBB17_1053
; %bb.1046:
	s_cmp_gt_i32 s22, 28
	s_cbranch_scc0 .LBB17_1054
	;; [unrolled: 3-line block ×4, first 2 shown]
; %bb.1049:
	s_cmp_eq_u32 s22, 46
	s_mov_b64 s[14:15], 0
	s_cbranch_scc0 .LBB17_1059
; %bb.1050:
	global_load_dword v3, v[0:1], off
	s_mov_b64 s[16:17], -1
	s_waitcnt vmcnt(0)
	v_lshlrev_b32_e32 v3, 16, v3
	s_branch .LBB17_1060
.LBB17_1051:
	s_mov_b64 s[16:17], 0
                                        ; implicit-def: $vgpr3
	s_mov_b64 s[14:15], s[6:7]
	s_cbranch_execnz .LBB17_1123
.LBB17_1052:
	s_andn2_b64 vcc, exec, s[16:17]
	s_cbranch_vccz .LBB17_1168
	s_branch .LBB17_1650
.LBB17_1053:
	s_mov_b64 s[16:17], 0
                                        ; implicit-def: $vgpr3
	s_cbranch_execnz .LBB17_1088
	s_branch .LBB17_1119
.LBB17_1054:
	s_mov_b64 s[14:15], -1
	s_mov_b64 s[16:17], 0
                                        ; implicit-def: $vgpr3
	s_branch .LBB17_1069
.LBB17_1055:
	s_mov_b64 s[16:17], 0
                                        ; implicit-def: $vgpr3
	s_cbranch_execnz .LBB17_1065
	s_branch .LBB17_1068
.LBB17_1056:
	s_mov_b64 s[14:15], -1
	s_mov_b64 s[16:17], 0
                                        ; implicit-def: $vgpr3
	s_branch .LBB17_1060
.LBB17_1057:
	s_andn2_saveexec_b64 s[22:23], s[22:23]
	s_cbranch_execz .LBB17_956
.LBB17_1058:
	s_mov_b32 s24, 0x46000000
	v_add_f32_e64 v1, |v0|, s24
	v_and_b32_e32 v1, 0xff, v1
	v_cmp_ne_u32_e32 vcc, 0, v1
	s_andn2_b64 s[20:21], s[20:21], exec
	s_and_b64 s[24:25], vcc, exec
	s_or_b64 s[20:21], s[20:21], s[24:25]
	s_or_b64 exec, exec, s[22:23]
	v_mov_b32_e32 v4, 0
	s_and_saveexec_b64 s[22:23], s[20:21]
	s_cbranch_execnz .LBB17_957
	s_branch .LBB17_958
.LBB17_1059:
	s_mov_b64 s[0:1], -1
                                        ; implicit-def: $vgpr3
	s_mov_b64 s[16:17], 0
.LBB17_1060:
	s_and_b64 vcc, exec, s[14:15]
	s_cbranch_vccz .LBB17_1063
; %bb.1061:
	s_cmp_eq_u32 s22, 44
	s_cbranch_scc0 .LBB17_1064
; %bb.1062:
	global_load_ubyte v3, v[0:1], off
	s_movk_i32 s14, 0xff
	v_mov_b32_e32 v4, 0x7f800001
	v_mov_b32_e32 v5, 0x400000
	s_mov_b64 s[0:1], 0
	s_mov_b64 s[16:17], -1
	s_waitcnt vmcnt(0)
	v_lshlrev_b32_e32 v6, 23, v3
	v_cmp_ne_u32_e32 vcc, s14, v3
	v_cndmask_b32_e32 v4, v4, v6, vcc
	v_cmp_ne_u32_e32 vcc, 0, v3
	v_cndmask_b32_e32 v3, v5, v4, vcc
.LBB17_1063:
	s_branch .LBB17_1068
.LBB17_1064:
	s_mov_b64 s[0:1], -1
                                        ; implicit-def: $vgpr3
	s_branch .LBB17_1068
.LBB17_1065:
	s_cmp_eq_u32 s22, 29
	s_cbranch_scc0 .LBB17_1067
; %bb.1066:
	global_load_dwordx2 v[3:4], v[0:1], off
	s_mov_b64 s[0:1], 0
	s_mov_b64 s[16:17], -1
	s_mov_b64 s[14:15], 0
	s_waitcnt vmcnt(0)
	v_ffbh_u32_e32 v5, v4
	v_min_u32_e32 v5, 32, v5
	v_lshlrev_b64 v[3:4], v5, v[3:4]
	v_min_u32_e32 v3, 1, v3
	v_or_b32_e32 v3, v4, v3
	v_cvt_f32_u32_e32 v3, v3
	v_sub_u32_e32 v4, 32, v5
	v_ldexp_f32 v3, v3, v4
	s_branch .LBB17_1069
.LBB17_1067:
	s_mov_b64 s[0:1], -1
                                        ; implicit-def: $vgpr3
.LBB17_1068:
	s_mov_b64 s[14:15], 0
.LBB17_1069:
	s_and_b64 vcc, exec, s[14:15]
	s_cbranch_vccz .LBB17_1087
; %bb.1070:
	s_cmp_lt_i32 s22, 27
	s_cbranch_scc1 .LBB17_1073
; %bb.1071:
	s_cmp_gt_i32 s22, 27
	s_cbranch_scc0 .LBB17_1074
; %bb.1072:
	global_load_dword v3, v[0:1], off
	s_mov_b64 s[14:15], 0
	s_waitcnt vmcnt(0)
	v_cvt_f32_u32_e32 v3, v3
	s_branch .LBB17_1075
.LBB17_1073:
	s_mov_b64 s[14:15], -1
                                        ; implicit-def: $vgpr3
	s_branch .LBB17_1078
.LBB17_1074:
	s_mov_b64 s[14:15], -1
                                        ; implicit-def: $vgpr3
.LBB17_1075:
	s_andn2_b64 vcc, exec, s[14:15]
	s_cbranch_vccnz .LBB17_1077
; %bb.1076:
	global_load_ushort v3, v[0:1], off
	s_waitcnt vmcnt(0)
	v_cvt_f32_u32_e32 v3, v3
.LBB17_1077:
	s_mov_b64 s[14:15], 0
.LBB17_1078:
	s_andn2_b64 vcc, exec, s[14:15]
	s_cbranch_vccnz .LBB17_1086
; %bb.1079:
	global_load_ubyte v4, v[0:1], off
	s_movk_i32 s14, 0x7f
	s_waitcnt vmcnt(0)
	v_cmp_lt_i16_e32 vcc, s14, v4
	s_mov_b64 s[14:15], 0
	s_and_saveexec_b64 s[16:17], vcc
	s_xor_b64 s[16:17], exec, s[16:17]
	s_cbranch_execz .LBB17_1099
; %bb.1080:
	s_movk_i32 s14, 0x80
	v_cmp_eq_u16_e32 vcc, s14, v4
	s_mov_b64 s[14:15], -1
	s_and_saveexec_b64 s[18:19], vcc
; %bb.1081:
	s_xor_b64 s[14:15], exec, -1
; %bb.1082:
	s_or_b64 exec, exec, s[18:19]
	s_and_b64 s[14:15], s[14:15], exec
	s_or_saveexec_b64 s[16:17], s[16:17]
	v_mov_b32_e32 v3, 0x7f800001
	s_xor_b64 exec, exec, s[16:17]
	s_cbranch_execnz .LBB17_1100
.LBB17_1083:
	s_or_b64 exec, exec, s[16:17]
	s_and_saveexec_b64 s[16:17], s[14:15]
	s_cbranch_execz .LBB17_1085
.LBB17_1084:
	v_lshlrev_b32_e32 v3, 24, v4
	v_and_b32_e32 v4, 0xffff, v4
	v_and_b32_e32 v5, 7, v4
	v_ffbh_u32_e32 v8, v5
	v_min_u32_e32 v8, 32, v8
	v_subrev_u32_e32 v9, 28, v8
	v_bfe_u32 v6, v4, 3, 4
	v_lshlrev_b32_e32 v4, v9, v4
	v_sub_u32_e32 v8, 29, v8
	v_and_b32_e32 v4, 7, v4
	v_cmp_eq_u32_e32 vcc, 0, v6
	v_cndmask_b32_e32 v6, v6, v8, vcc
	v_cndmask_b32_e32 v4, v5, v4, vcc
	v_mov_b32_e32 v5, 0x3b800000
	v_lshlrev_b32_e32 v4, 20, v4
	v_and_b32_e32 v3, 0x80000000, v3
	v_lshl_add_u32 v5, v6, 23, v5
	v_or3_b32 v3, v3, v5, v4
.LBB17_1085:
	s_or_b64 exec, exec, s[16:17]
.LBB17_1086:
	s_mov_b64 s[16:17], -1
.LBB17_1087:
	s_branch .LBB17_1119
.LBB17_1088:
	s_cmp_gt_i32 s22, 22
	s_cbranch_scc0 .LBB17_1098
; %bb.1089:
	s_cmp_lt_i32 s22, 24
	s_cbranch_scc1 .LBB17_1101
; %bb.1090:
	s_cmp_gt_i32 s22, 24
	s_cbranch_scc0 .LBB17_1102
; %bb.1091:
	global_load_ubyte v4, v[0:1], off
	s_movk_i32 s12, 0x7f
	s_waitcnt vmcnt(0)
	v_cmp_lt_i16_e32 vcc, s12, v4
	s_mov_b64 s[12:13], 0
	s_and_saveexec_b64 s[14:15], vcc
	s_xor_b64 s[14:15], exec, s[14:15]
	s_cbranch_execz .LBB17_1113
; %bb.1092:
	s_movk_i32 s12, 0x80
	v_cmp_eq_u16_e32 vcc, s12, v4
	s_mov_b64 s[12:13], -1
	s_and_saveexec_b64 s[16:17], vcc
; %bb.1093:
	s_xor_b64 s[12:13], exec, -1
; %bb.1094:
	s_or_b64 exec, exec, s[16:17]
	s_and_b64 s[12:13], s[12:13], exec
	s_or_saveexec_b64 s[14:15], s[14:15]
	v_mov_b32_e32 v3, 0x7f800001
	s_xor_b64 exec, exec, s[14:15]
	s_cbranch_execnz .LBB17_1114
.LBB17_1095:
	s_or_b64 exec, exec, s[14:15]
	s_and_saveexec_b64 s[14:15], s[12:13]
	s_cbranch_execz .LBB17_1097
.LBB17_1096:
	v_lshlrev_b32_e32 v3, 24, v4
	v_and_b32_e32 v4, 0xffff, v4
	v_and_b32_e32 v5, 3, v4
	v_ffbh_u32_e32 v8, v5
	v_min_u32_e32 v8, 32, v8
	v_subrev_u32_e32 v9, 29, v8
	v_bfe_u32 v6, v4, 2, 5
	v_lshlrev_b32_e32 v4, v9, v4
	v_sub_u32_e32 v8, 30, v8
	v_and_b32_e32 v4, 3, v4
	v_cmp_eq_u32_e32 vcc, 0, v6
	v_cndmask_b32_e32 v6, v6, v8, vcc
	v_cndmask_b32_e32 v4, v5, v4, vcc
	v_mov_b32_e32 v5, 0x37800000
	v_lshlrev_b32_e32 v4, 21, v4
	v_and_b32_e32 v3, 0x80000000, v3
	v_lshl_add_u32 v5, v6, 23, v5
	v_or3_b32 v3, v3, v5, v4
.LBB17_1097:
	s_or_b64 exec, exec, s[14:15]
	s_mov_b64 s[12:13], 0
	s_branch .LBB17_1103
.LBB17_1098:
                                        ; implicit-def: $vgpr3
	s_mov_b64 s[12:13], 0
	s_branch .LBB17_1109
.LBB17_1099:
	s_or_saveexec_b64 s[16:17], s[16:17]
	v_mov_b32_e32 v3, 0x7f800001
	s_xor_b64 exec, exec, s[16:17]
	s_cbranch_execz .LBB17_1083
.LBB17_1100:
	v_cmp_ne_u16_e32 vcc, 0, v4
	s_andn2_b64 s[14:15], s[14:15], exec
	s_and_b64 s[18:19], vcc, exec
	v_mov_b32_e32 v3, 0
	s_or_b64 s[14:15], s[14:15], s[18:19]
	s_or_b64 exec, exec, s[16:17]
	s_and_saveexec_b64 s[16:17], s[14:15]
	s_cbranch_execnz .LBB17_1084
	s_branch .LBB17_1085
.LBB17_1101:
	s_mov_b64 s[12:13], -1
                                        ; implicit-def: $vgpr3
	s_branch .LBB17_1106
.LBB17_1102:
	s_mov_b64 s[12:13], -1
                                        ; implicit-def: $vgpr3
.LBB17_1103:
	s_and_b64 vcc, exec, s[12:13]
	s_cbranch_vccz .LBB17_1105
; %bb.1104:
	global_load_ubyte v3, v[0:1], off
	s_mov_b32 s12, 0x7f800000
	s_waitcnt vmcnt(0)
	v_lshlrev_b32_e32 v3, 24, v3
	v_and_b32_e32 v4, 0x7f000000, v3
	v_ffbh_u32_e32 v5, v4
	v_min_u32_e32 v5, 32, v5
	v_sub_u32_e64 v5, v5, 4 clamp
	v_lshlrev_b32_e32 v8, v5, v4
	v_lshlrev_b32_e32 v5, 23, v5
	v_lshrrev_b32_e32 v8, 4, v8
	v_add_u32_e32 v6, 0x1000000, v4
	v_sub_u32_e32 v5, v8, v5
	v_ashrrev_i32_e32 v6, 8, v6
	v_add_u32_e32 v5, 0x3c000000, v5
	v_and_or_b32 v5, v6, s12, v5
	v_cmp_ne_u32_e32 vcc, 0, v4
	v_cndmask_b32_e32 v4, 0, v5, vcc
	s_brev_b32 s12, 1
	v_and_or_b32 v3, v3, s12, v4
.LBB17_1105:
	s_mov_b64 s[12:13], 0
.LBB17_1106:
	s_andn2_b64 vcc, exec, s[12:13]
	s_cbranch_vccnz .LBB17_1108
; %bb.1107:
	global_load_ubyte v3, v[0:1], off
	s_movk_i32 s12, 0x7f00
	s_brev_b32 s13, 16
	s_waitcnt vmcnt(0)
	v_lshlrev_b16_e32 v4, 8, v3
	v_lshlrev_b32_e32 v3, 25, v3
	v_lshrrev_b32_e32 v5, 4, v3
	v_and_or_b32 v6, v4, s12, 0.5
	v_or_b32_e32 v5, 0x70000000, v5
	v_add_f32_e32 v6, -0.5, v6
	v_mul_f32_e32 v5, 0x7800000, v5
	v_cmp_gt_u32_e32 vcc, s13, v3
	v_bfe_i32 v4, v4, 0, 16
	v_cndmask_b32_e32 v3, v5, v6, vcc
	s_brev_b32 s12, 1
	v_and_or_b32 v3, v4, s12, v3
.LBB17_1108:
	s_mov_b64 s[16:17], -1
	s_mov_b64 s[12:13], 0
	s_cbranch_execnz .LBB17_1119
.LBB17_1109:
	s_cmp_gt_i32 s22, 14
	s_cbranch_scc0 .LBB17_1112
; %bb.1110:
	s_cmp_eq_u32 s22, 15
	s_cbranch_scc0 .LBB17_1115
; %bb.1111:
	global_load_ushort v3, v[0:1], off
	s_mov_b64 s[0:1], 0
	s_mov_b64 s[16:17], -1
	s_waitcnt vmcnt(0)
	v_lshlrev_b32_e32 v3, 16, v3
	s_branch .LBB17_1116
.LBB17_1112:
	s_mov_b64 s[14:15], -1
                                        ; implicit-def: $vgpr3
	s_branch .LBB17_1117
.LBB17_1113:
	s_or_saveexec_b64 s[14:15], s[14:15]
	v_mov_b32_e32 v3, 0x7f800001
	s_xor_b64 exec, exec, s[14:15]
	s_cbranch_execz .LBB17_1095
.LBB17_1114:
	v_cmp_ne_u16_e32 vcc, 0, v4
	s_andn2_b64 s[12:13], s[12:13], exec
	s_and_b64 s[16:17], vcc, exec
	v_mov_b32_e32 v3, 0
	s_or_b64 s[12:13], s[12:13], s[16:17]
	s_or_b64 exec, exec, s[14:15]
	s_and_saveexec_b64 s[14:15], s[12:13]
	s_cbranch_execnz .LBB17_1096
	s_branch .LBB17_1097
.LBB17_1115:
	s_mov_b64 s[0:1], -1
                                        ; implicit-def: $vgpr3
.LBB17_1116:
	s_mov_b64 s[14:15], 0
.LBB17_1117:
	s_and_b64 vcc, exec, s[14:15]
	s_cbranch_vccz .LBB17_1119
; %bb.1118:
	s_cmp_lg_u32 s22, 11
	s_mov_b64 s[12:13], -1
	s_cselect_b64 s[0:1], -1, 0
.LBB17_1119:
	s_and_b64 vcc, exec, s[0:1]
	s_mov_b64 s[14:15], s[6:7]
	s_cbranch_vccnz .LBB17_1184
; %bb.1120:
	s_andn2_b64 vcc, exec, s[12:13]
	s_cbranch_vccnz .LBB17_1122
.LBB17_1121:
	global_load_ubyte v3, v[0:1], off
	s_mov_b64 s[16:17], -1
	s_waitcnt vmcnt(0)
	v_cmp_ne_u16_e32 vcc, 0, v3
	v_cndmask_b32_e64 v3, 0, 1.0, vcc
.LBB17_1122:
	s_branch .LBB17_1052
.LBB17_1123:
	s_cmp_lt_i32 s22, 5
	s_cbranch_scc1 .LBB17_1128
; %bb.1124:
	s_cmp_lt_i32 s22, 8
	s_cbranch_scc1 .LBB17_1129
; %bb.1125:
	;; [unrolled: 3-line block ×3, first 2 shown]
	s_cmp_gt_i32 s22, 9
	s_cbranch_scc0 .LBB17_1131
; %bb.1127:
	global_load_dwordx2 v[3:4], v[0:1], off
	s_mov_b64 s[0:1], 0
	s_waitcnt vmcnt(0)
	v_cvt_f32_f64_e32 v3, v[3:4]
	s_branch .LBB17_1132
.LBB17_1128:
                                        ; implicit-def: $vgpr3
	s_branch .LBB17_1149
.LBB17_1129:
                                        ; implicit-def: $vgpr3
	s_branch .LBB17_1138
.LBB17_1130:
	s_mov_b64 s[0:1], -1
                                        ; implicit-def: $vgpr3
	s_branch .LBB17_1135
.LBB17_1131:
	s_mov_b64 s[0:1], -1
                                        ; implicit-def: $vgpr3
.LBB17_1132:
	s_andn2_b64 vcc, exec, s[0:1]
	s_cbranch_vccnz .LBB17_1134
; %bb.1133:
	global_load_dword v3, v[0:1], off
.LBB17_1134:
	s_mov_b64 s[0:1], 0
.LBB17_1135:
	s_andn2_b64 vcc, exec, s[0:1]
	s_cbranch_vccnz .LBB17_1137
; %bb.1136:
	global_load_dword v3, v[0:1], off
	s_waitcnt vmcnt(0)
	v_cvt_f32_f16_e32 v3, v3
.LBB17_1137:
	s_cbranch_execnz .LBB17_1148
.LBB17_1138:
	s_cmp_lt_i32 s22, 6
	s_cbranch_scc1 .LBB17_1141
; %bb.1139:
	s_cmp_gt_i32 s22, 6
	s_cbranch_scc0 .LBB17_1142
; %bb.1140:
	global_load_dwordx2 v[3:4], v[0:1], off
	s_mov_b64 s[0:1], 0
	s_waitcnt vmcnt(0)
	v_cvt_f32_f64_e32 v3, v[3:4]
	s_branch .LBB17_1143
.LBB17_1141:
	s_mov_b64 s[0:1], -1
                                        ; implicit-def: $vgpr3
	s_branch .LBB17_1146
.LBB17_1142:
	s_mov_b64 s[0:1], -1
                                        ; implicit-def: $vgpr3
.LBB17_1143:
	s_andn2_b64 vcc, exec, s[0:1]
	s_cbranch_vccnz .LBB17_1145
; %bb.1144:
	global_load_dword v3, v[0:1], off
.LBB17_1145:
	s_mov_b64 s[0:1], 0
.LBB17_1146:
	s_andn2_b64 vcc, exec, s[0:1]
	s_cbranch_vccnz .LBB17_1148
; %bb.1147:
	global_load_ushort v3, v[0:1], off
	s_waitcnt vmcnt(0)
	v_cvt_f32_f16_e32 v3, v3
.LBB17_1148:
	s_cbranch_execnz .LBB17_1167
.LBB17_1149:
	s_cmp_lt_i32 s22, 2
	s_cbranch_scc1 .LBB17_1153
; %bb.1150:
	s_cmp_lt_i32 s22, 3
	s_cbranch_scc1 .LBB17_1154
; %bb.1151:
	s_cmp_gt_i32 s22, 3
	s_cbranch_scc0 .LBB17_1155
; %bb.1152:
	global_load_dwordx2 v[3:4], v[0:1], off
	s_mov_b64 s[0:1], 0
	s_waitcnt vmcnt(0)
	v_xor_b32_e32 v6, v3, v4
	v_ffbh_i32_e32 v5, v4
	v_ashrrev_i32_e32 v6, 31, v6
	v_add_u32_e32 v5, -1, v5
	v_add_u32_e32 v6, 32, v6
	v_min_u32_e32 v5, v5, v6
	v_lshlrev_b64 v[3:4], v5, v[3:4]
	v_min_u32_e32 v3, 1, v3
	v_or_b32_e32 v3, v4, v3
	v_cvt_f32_i32_e32 v3, v3
	v_sub_u32_e32 v4, 32, v5
	v_ldexp_f32 v3, v3, v4
	s_branch .LBB17_1156
.LBB17_1153:
                                        ; implicit-def: $vgpr3
	s_branch .LBB17_1162
.LBB17_1154:
	s_mov_b64 s[0:1], -1
                                        ; implicit-def: $vgpr3
	s_branch .LBB17_1159
.LBB17_1155:
	s_mov_b64 s[0:1], -1
                                        ; implicit-def: $vgpr3
.LBB17_1156:
	s_andn2_b64 vcc, exec, s[0:1]
	s_cbranch_vccnz .LBB17_1158
; %bb.1157:
	global_load_dword v3, v[0:1], off
	s_waitcnt vmcnt(0)
	v_cvt_f32_i32_e32 v3, v3
.LBB17_1158:
	s_mov_b64 s[0:1], 0
.LBB17_1159:
	s_andn2_b64 vcc, exec, s[0:1]
	s_cbranch_vccnz .LBB17_1161
; %bb.1160:
	global_load_sshort v3, v[0:1], off
	s_waitcnt vmcnt(0)
	v_cvt_f32_i32_e32 v3, v3
.LBB17_1161:
	s_cbranch_execnz .LBB17_1167
.LBB17_1162:
	s_cmp_gt_i32 s22, 0
	s_cbranch_scc0 .LBB17_1164
; %bb.1163:
	global_load_sbyte v3, v[0:1], off
	s_mov_b64 s[0:1], 0
	s_waitcnt vmcnt(0)
	v_cvt_f32_i32_e32 v3, v3
	s_branch .LBB17_1165
.LBB17_1164:
	s_mov_b64 s[0:1], -1
                                        ; implicit-def: $vgpr3
.LBB17_1165:
	s_andn2_b64 vcc, exec, s[0:1]
	s_cbranch_vccnz .LBB17_1167
; %bb.1166:
	global_load_ubyte v0, v[0:1], off
	s_waitcnt vmcnt(0)
	v_cvt_f32_ubyte0_e32 v3, v0
.LBB17_1167:
.LBB17_1168:
	s_mov_b32 s0, 0x41000000
	s_waitcnt vmcnt(0)
	v_cmp_le_f32_e64 s[0:1], |v3|, s0
                                        ; implicit-def: $vgpr0
	s_and_saveexec_b64 s[12:13], s[0:1]
	s_xor_b64 s[0:1], exec, s[12:13]
	s_cbranch_execz .LBB17_1170
; %bb.1169:
	v_fma_f32 v0, |v3|, 0.5, -2.0
	v_mov_b32_e32 v1, 0x24199b15
	v_fmac_f32_e32 v1, 0xa2a2e5b9, v0
	v_mov_b32_e32 v4, 0x22a2e5b9
	v_fmac_f32_e32 v4, v0, v1
	v_add_f32_e32 v4, 0xa58c275c, v4
	v_fma_f32 v1, v0, v4, -v1
	v_add_f32_e32 v1, 0x26f736c5, v1
	v_fma_f32 v4, v0, v1, -v4
	;; [unrolled: 2-line block ×22, first 2 shown]
	v_add_f32_e32 v4, 0xbcc274f8, v4
	s_mov_b32 s12, 0x3fb8aa3b
	v_fma_f32 v1, v0, v4, -v1
	v_mul_f32_e64 v5, |v3|, s12
	v_add_f32_e32 v1, 0x3d49f456, v1
	v_rndne_f32_e32 v6, v5
	v_fma_f32 v4, v0, v1, -v4
	v_sub_f32_e32 v8, v5, v6
	v_fma_f32 v5, |v3|, s12, -v5
	s_mov_b32 s12, 0x32a5705f
	v_add_f32_e32 v4, 0xbdc25b82, v4
	v_fma_f32 v5, |v3|, s12, v5
	v_fma_f32 v1, v0, v4, -v1
	v_add_f32_e32 v5, v8, v5
	v_add_f32_e32 v1, 0x3e2fbd64, v1
	v_exp_f32_e32 v5, v5
	v_cvt_i32_f32_e32 v6, v6
	v_fma_f32 v4, v0, v1, -v4
	v_add_f32_e32 v4, 0xbe9bff5e, v4
	v_fma_f32 v0, v0, v4, -v1
	s_mov_b32 s12, 0xc2ce8ed0
	v_add_f32_e32 v0, 0x3f2d4275, v0
	v_ldexp_f32 v4, v5, v6
	v_cmp_nlt_f32_e64 vcc, |v3|, s12
	s_mov_b32 s12, 0x42b17218
	v_cndmask_b32_e32 v4, 0, v4, vcc
	v_mov_b32_e32 v5, 0x7f800000
	v_cmp_ngt_f32_e64 vcc, |v3|, s12
	v_sub_f32_e32 v0, v0, v1
	v_cndmask_b32_e32 v3, v5, v4, vcc
	v_mul_f32_e32 v0, 0.5, v0
	v_mul_f32_e32 v0, v3, v0
                                        ; implicit-def: $vgpr3
.LBB17_1170:
	s_andn2_saveexec_b64 s[12:13], s[0:1]
	s_cbranch_execz .LBB17_1172
; %bb.1171:
	v_and_b32_e32 v0, 0x7fffffff, v3
	s_mov_b32 s16, 0x42000000
	v_div_scale_f32 v1, s[0:1], v0, v0, s16
	v_div_scale_f32 v0, vcc, s16, v0, s16
	s_mov_b32 s0, 0x3fb8aa3b
	v_mul_f32_e64 v6, |v3|, s0
	s_mov_b32 s1, 0x32a5705f
	v_rndne_f32_e32 v10, v6
	v_fma_f32 v11, |v3|, s0, -v6
	s_mov_b32 s19, 0xf800000
	s_mov_b32 s20, 0x4f800000
	v_sub_f32_e32 v6, v6, v10
	v_mul_f32_e64 v9, |v3|, s20
	v_mov_b32_e32 v4, 0xa2b236d3
	v_mov_b32_e32 v5, 0x23056dbb
	s_mov_b32 s17, 0xc2ce8ed0
	v_rcp_f32_e32 v8, v1
	s_mov_b32 s18, 0x42b17218
	v_fma_f32 v12, -v1, v8, 1.0
	v_fmac_f32_e32 v8, v12, v8
	v_mul_f32_e32 v12, v0, v8
	v_fma_f32 v13, -v1, v12, v0
	v_fmac_f32_e32 v12, v13, v8
	v_fma_f32 v0, -v1, v12, v0
	v_div_fmas_f32 v0, v0, v8, v12
	v_fma_f32 v8, |v3|, s1, v11
	v_cmp_lt_f32_e64 vcc, |v3|, s19
	v_add_f32_e32 v6, v6, v8
	v_cndmask_b32_e64 v1, |v3|, v9, vcc
	v_cvt_i32_f32_e32 v9, v10
	v_exp_f32_e32 v6, v6
	v_cmp_nlt_f32_e64 s[0:1], |v3|, s17
	v_sqrt_f32_e32 v10, v1
	v_mov_b32_e32 v8, 0x7f800000
	v_ldexp_f32 v6, v6, v9
	v_cndmask_b32_e64 v6, 0, v6, s[0:1]
	v_cmp_ngt_f32_e64 s[0:1], |v3|, s18
	v_add_u32_e32 v11, -1, v10
	v_fma_f32 v12, -v11, v10, v1
	v_cndmask_b32_e64 v6, v8, v6, s[0:1]
	v_div_fixup_f32 v0, v0, |v3|, s16
	v_add_f32_e32 v0, -2.0, v0
	v_fmac_f32_e32 v4, 0xa3056dbb, v0
	v_fmac_f32_e32 v5, v0, v4
	v_add_f32_e32 v3, 0x244df0c1, v5
	v_fma_f32 v4, v0, v3, -v4
	v_add_f32_e32 v4, 0x241f9ee8, v4
	v_fma_f32 v3, v0, v4, -v3
	;; [unrolled: 2-line block ×22, first 2 shown]
	v_add_u32_e32 v4, 1, v10
	v_add_f32_e32 v0, 0x3f4df315, v0
	v_cmp_ge_f32_e64 s[0:1], 0, v12
	v_fma_f32 v5, -v4, v10, v1
	v_sub_f32_e32 v0, v0, v3
	v_cndmask_b32_e64 v3, v10, v11, s[0:1]
	v_cmp_lt_f32_e64 s[0:1], 0, v5
	v_cndmask_b32_e64 v3, v3, v4, s[0:1]
	v_mul_f32_e32 v4, 0x37800000, v3
	v_cndmask_b32_e32 v3, v3, v4, vcc
	v_mov_b32_e32 v4, 0x260
	v_mul_f32_e32 v0, 0.5, v0
	v_cmp_class_f32_e32 vcc, v1, v4
	v_mul_f32_e32 v0, v6, v0
	v_cndmask_b32_e32 v1, v3, v1, vcc
	v_div_scale_f32 v3, s[0:1], v1, v1, v0
	v_div_scale_f32 v4, vcc, v0, v1, v0
	v_rcp_f32_e32 v5, v3
	v_fma_f32 v6, -v3, v5, 1.0
	v_fmac_f32_e32 v5, v6, v5
	v_mul_f32_e32 v6, v4, v5
	v_fma_f32 v8, -v3, v6, v4
	v_fmac_f32_e32 v6, v8, v5
	v_fma_f32 v3, -v3, v6, v4
	v_div_fmas_f32 v3, v3, v5, v6
	v_div_fixup_f32 v0, v3, v1, v0
.LBB17_1172:
	s_or_b64 exec, exec, s[12:13]
	s_lshl_b32 s3, s3, 7
	v_add_u32_e32 v3, s3, v2
	v_ashrrev_i32_e32 v2, 31, v3
	v_mov_b32_e32 v4, s11
	v_add_co_u32_e32 v1, vcc, s10, v3
	s_cmp_lt_i32 s22, 11
	v_addc_co_u32_e32 v2, vcc, v4, v2, vcc
	s_cbranch_scc1 .LBB17_1179
; %bb.1173:
	s_cmp_gt_i32 s22, 25
	s_mov_b64 s[12:13], 0
	s_cbranch_scc0 .LBB17_1181
; %bb.1174:
	s_cmp_gt_i32 s22, 28
	s_cbranch_scc0 .LBB17_1182
; %bb.1175:
	s_cmp_gt_i32 s22, 43
	;; [unrolled: 3-line block ×3, first 2 shown]
	s_cbranch_scc0 .LBB17_1185
; %bb.1177:
	s_cmp_eq_u32 s22, 46
	s_mov_b64 s[18:19], 0
	s_cbranch_scc0 .LBB17_1188
; %bb.1178:
	global_load_dword v4, v[1:2], off
	s_mov_b64 s[0:1], 0
	s_mov_b64 s[16:17], -1
	s_waitcnt vmcnt(0)
	v_lshlrev_b32_e32 v4, 16, v4
	s_branch .LBB17_1189
.LBB17_1179:
	s_mov_b64 s[16:17], 0
                                        ; implicit-def: $vgpr4
	s_cbranch_execnz .LBB17_1254
.LBB17_1180:
	s_andn2_b64 vcc, exec, s[16:17]
	s_cbranch_vccnz .LBB17_1650
	s_branch .LBB17_1301
.LBB17_1181:
	s_mov_b64 s[16:17], 0
	s_mov_b64 s[0:1], 0
                                        ; implicit-def: $vgpr4
	s_cbranch_execnz .LBB17_1218
	s_branch .LBB17_1250
.LBB17_1182:
	s_mov_b64 s[18:19], -1
	s_mov_b64 s[16:17], 0
	s_mov_b64 s[0:1], 0
                                        ; implicit-def: $vgpr4
	s_branch .LBB17_1199
.LBB17_1183:
	s_mov_b64 s[18:19], -1
	s_mov_b64 s[16:17], 0
	s_mov_b64 s[0:1], 0
                                        ; implicit-def: $vgpr4
	s_branch .LBB17_1194
.LBB17_1184:
	s_or_b64 s[14:15], s[6:7], exec
	s_trap 2
	s_cbranch_execz .LBB17_1121
	s_branch .LBB17_1122
.LBB17_1185:
	s_mov_b64 s[18:19], -1
	s_mov_b64 s[16:17], 0
	s_mov_b64 s[0:1], 0
                                        ; implicit-def: $vgpr4
	s_branch .LBB17_1189
.LBB17_1186:
	s_andn2_saveexec_b64 s[24:25], s[24:25]
	s_cbranch_execz .LBB17_968
.LBB17_1187:
	s_mov_b32 s28, 0x42800000
	v_add_f32_e64 v1, |v0|, s28
	v_and_b32_e32 v1, 0xff, v1
	v_cmp_ne_u32_e32 vcc, 0, v1
	s_andn2_b64 s[22:23], s[22:23], exec
	s_and_b64 s[28:29], vcc, exec
	s_or_b64 s[22:23], s[22:23], s[28:29]
	s_or_b64 exec, exec, s[24:25]
	v_mov_b32_e32 v4, 0
	s_and_saveexec_b64 s[24:25], s[22:23]
	s_cbranch_execnz .LBB17_969
	s_branch .LBB17_970
.LBB17_1188:
	s_mov_b64 s[0:1], -1
                                        ; implicit-def: $vgpr4
	s_mov_b64 s[16:17], 0
.LBB17_1189:
	s_and_b64 vcc, exec, s[18:19]
	s_cbranch_vccz .LBB17_1193
; %bb.1190:
	s_cmp_eq_u32 s22, 44
	s_cbranch_scc0 .LBB17_1192
; %bb.1191:
	global_load_ubyte v4, v[1:2], off
	s_movk_i32 s16, 0xff
	v_mov_b32_e32 v5, 0x7f800001
	v_mov_b32_e32 v6, 0x400000
	s_mov_b64 s[0:1], 0
	s_waitcnt vmcnt(0)
	v_lshlrev_b32_e32 v8, 23, v4
	v_cmp_ne_u32_e32 vcc, s16, v4
	v_cndmask_b32_e32 v5, v5, v8, vcc
	v_cmp_ne_u32_e32 vcc, 0, v4
	v_cndmask_b32_e32 v4, v6, v5, vcc
	s_mov_b64 s[16:17], -1
	s_branch .LBB17_1193
.LBB17_1192:
	s_mov_b64 s[0:1], -1
                                        ; implicit-def: $vgpr4
.LBB17_1193:
	s_mov_b64 s[18:19], 0
.LBB17_1194:
	s_and_b64 vcc, exec, s[18:19]
	s_cbranch_vccz .LBB17_1198
; %bb.1195:
	s_cmp_eq_u32 s22, 29
	s_cbranch_scc0 .LBB17_1197
; %bb.1196:
	global_load_dwordx2 v[4:5], v[1:2], off
	s_mov_b64 s[0:1], 0
	s_mov_b64 s[16:17], -1
	s_mov_b64 s[18:19], 0
	s_waitcnt vmcnt(0)
	v_ffbh_u32_e32 v6, v5
	v_min_u32_e32 v6, 32, v6
	v_lshlrev_b64 v[4:5], v6, v[4:5]
	v_min_u32_e32 v4, 1, v4
	v_or_b32_e32 v4, v5, v4
	v_cvt_f32_u32_e32 v4, v4
	v_sub_u32_e32 v5, 32, v6
	v_ldexp_f32 v4, v4, v5
	s_branch .LBB17_1199
.LBB17_1197:
	s_mov_b64 s[0:1], -1
                                        ; implicit-def: $vgpr4
.LBB17_1198:
	s_mov_b64 s[18:19], 0
.LBB17_1199:
	s_and_b64 vcc, exec, s[18:19]
	s_cbranch_vccz .LBB17_1217
; %bb.1200:
	s_cmp_lt_i32 s22, 27
	s_cbranch_scc1 .LBB17_1203
; %bb.1201:
	s_cmp_gt_i32 s22, 27
	s_cbranch_scc0 .LBB17_1204
; %bb.1202:
	global_load_dword v4, v[1:2], off
	s_mov_b64 s[16:17], 0
	s_waitcnt vmcnt(0)
	v_cvt_f32_u32_e32 v4, v4
	s_branch .LBB17_1205
.LBB17_1203:
	s_mov_b64 s[16:17], -1
                                        ; implicit-def: $vgpr4
	s_branch .LBB17_1208
.LBB17_1204:
	s_mov_b64 s[16:17], -1
                                        ; implicit-def: $vgpr4
.LBB17_1205:
	s_andn2_b64 vcc, exec, s[16:17]
	s_cbranch_vccnz .LBB17_1207
; %bb.1206:
	global_load_ushort v4, v[1:2], off
	s_waitcnt vmcnt(0)
	v_cvt_f32_u32_e32 v4, v4
.LBB17_1207:
	s_mov_b64 s[16:17], 0
.LBB17_1208:
	s_andn2_b64 vcc, exec, s[16:17]
	s_cbranch_vccnz .LBB17_1216
; %bb.1209:
	global_load_ubyte v5, v[1:2], off
	s_movk_i32 s16, 0x7f
	s_waitcnt vmcnt(0)
	v_cmp_lt_i16_e32 vcc, s16, v5
	s_mov_b64 s[16:17], 0
	s_and_saveexec_b64 s[18:19], vcc
	s_xor_b64 s[18:19], exec, s[18:19]
	s_cbranch_execz .LBB17_1229
; %bb.1210:
	s_movk_i32 s16, 0x80
	v_cmp_eq_u16_e32 vcc, s16, v5
	s_mov_b64 s[16:17], -1
	s_and_saveexec_b64 s[20:21], vcc
; %bb.1211:
	s_xor_b64 s[16:17], exec, -1
; %bb.1212:
	s_or_b64 exec, exec, s[20:21]
	s_and_b64 s[16:17], s[16:17], exec
	s_or_saveexec_b64 s[18:19], s[18:19]
	v_mov_b32_e32 v4, 0x7f800001
	s_xor_b64 exec, exec, s[18:19]
	s_cbranch_execnz .LBB17_1230
.LBB17_1213:
	s_or_b64 exec, exec, s[18:19]
	s_and_saveexec_b64 s[18:19], s[16:17]
	s_cbranch_execz .LBB17_1215
.LBB17_1214:
	v_lshlrev_b32_e32 v4, 24, v5
	v_and_b32_e32 v5, 0xffff, v5
	v_and_b32_e32 v6, 7, v5
	v_ffbh_u32_e32 v9, v6
	v_min_u32_e32 v9, 32, v9
	v_subrev_u32_e32 v10, 28, v9
	v_bfe_u32 v8, v5, 3, 4
	v_lshlrev_b32_e32 v5, v10, v5
	v_sub_u32_e32 v9, 29, v9
	v_and_b32_e32 v5, 7, v5
	v_cmp_eq_u32_e32 vcc, 0, v8
	v_cndmask_b32_e32 v8, v8, v9, vcc
	v_cndmask_b32_e32 v5, v6, v5, vcc
	v_mov_b32_e32 v6, 0x3b800000
	v_lshlrev_b32_e32 v5, 20, v5
	v_and_b32_e32 v4, 0x80000000, v4
	v_lshl_add_u32 v6, v8, 23, v6
	v_or3_b32 v4, v4, v6, v5
.LBB17_1215:
	s_or_b64 exec, exec, s[18:19]
.LBB17_1216:
	s_mov_b64 s[16:17], -1
.LBB17_1217:
	s_branch .LBB17_1250
.LBB17_1218:
	s_cmp_gt_i32 s22, 22
	s_cbranch_scc0 .LBB17_1228
; %bb.1219:
	s_cmp_lt_i32 s22, 24
	s_cbranch_scc1 .LBB17_1231
; %bb.1220:
	s_cmp_gt_i32 s22, 24
	s_cbranch_scc0 .LBB17_1232
; %bb.1221:
	global_load_ubyte v5, v[1:2], off
	s_movk_i32 s12, 0x7f
	s_waitcnt vmcnt(0)
	v_cmp_lt_i16_e32 vcc, s12, v5
	s_mov_b64 s[12:13], 0
	s_and_saveexec_b64 s[16:17], vcc
	s_xor_b64 s[16:17], exec, s[16:17]
	s_cbranch_execz .LBB17_1244
; %bb.1222:
	s_movk_i32 s12, 0x80
	v_cmp_eq_u16_e32 vcc, s12, v5
	s_mov_b64 s[12:13], -1
	s_and_saveexec_b64 s[18:19], vcc
; %bb.1223:
	s_xor_b64 s[12:13], exec, -1
; %bb.1224:
	s_or_b64 exec, exec, s[18:19]
	s_and_b64 s[12:13], s[12:13], exec
	s_or_saveexec_b64 s[16:17], s[16:17]
	v_mov_b32_e32 v4, 0x7f800001
	s_xor_b64 exec, exec, s[16:17]
	s_cbranch_execnz .LBB17_1245
.LBB17_1225:
	s_or_b64 exec, exec, s[16:17]
	s_and_saveexec_b64 s[16:17], s[12:13]
	s_cbranch_execz .LBB17_1227
.LBB17_1226:
	v_lshlrev_b32_e32 v4, 24, v5
	v_and_b32_e32 v5, 0xffff, v5
	v_and_b32_e32 v6, 3, v5
	v_ffbh_u32_e32 v9, v6
	v_min_u32_e32 v9, 32, v9
	v_subrev_u32_e32 v10, 29, v9
	v_bfe_u32 v8, v5, 2, 5
	v_lshlrev_b32_e32 v5, v10, v5
	v_sub_u32_e32 v9, 30, v9
	v_and_b32_e32 v5, 3, v5
	v_cmp_eq_u32_e32 vcc, 0, v8
	v_cndmask_b32_e32 v8, v8, v9, vcc
	v_cndmask_b32_e32 v5, v6, v5, vcc
	v_mov_b32_e32 v6, 0x37800000
	v_lshlrev_b32_e32 v5, 21, v5
	v_and_b32_e32 v4, 0x80000000, v4
	v_lshl_add_u32 v6, v8, 23, v6
	v_or3_b32 v4, v4, v6, v5
.LBB17_1227:
	s_or_b64 exec, exec, s[16:17]
	s_mov_b64 s[12:13], 0
	s_branch .LBB17_1233
.LBB17_1228:
	s_mov_b64 s[12:13], -1
                                        ; implicit-def: $vgpr4
	s_branch .LBB17_1239
.LBB17_1229:
	s_or_saveexec_b64 s[18:19], s[18:19]
	v_mov_b32_e32 v4, 0x7f800001
	s_xor_b64 exec, exec, s[18:19]
	s_cbranch_execz .LBB17_1213
.LBB17_1230:
	v_cmp_ne_u16_e32 vcc, 0, v5
	s_andn2_b64 s[16:17], s[16:17], exec
	s_and_b64 s[20:21], vcc, exec
	v_mov_b32_e32 v4, 0
	s_or_b64 s[16:17], s[16:17], s[20:21]
	s_or_b64 exec, exec, s[18:19]
	s_and_saveexec_b64 s[18:19], s[16:17]
	s_cbranch_execnz .LBB17_1214
	s_branch .LBB17_1215
.LBB17_1231:
	s_mov_b64 s[12:13], -1
                                        ; implicit-def: $vgpr4
	s_branch .LBB17_1236
.LBB17_1232:
	s_mov_b64 s[12:13], -1
                                        ; implicit-def: $vgpr4
.LBB17_1233:
	s_and_b64 vcc, exec, s[12:13]
	s_cbranch_vccz .LBB17_1235
; %bb.1234:
	global_load_ubyte v4, v[1:2], off
	s_mov_b32 s12, 0x7f800000
	s_waitcnt vmcnt(0)
	v_lshlrev_b32_e32 v4, 24, v4
	v_and_b32_e32 v5, 0x7f000000, v4
	v_ffbh_u32_e32 v6, v5
	v_min_u32_e32 v6, 32, v6
	v_sub_u32_e64 v6, v6, 4 clamp
	v_lshlrev_b32_e32 v9, v6, v5
	v_lshlrev_b32_e32 v6, 23, v6
	v_lshrrev_b32_e32 v9, 4, v9
	v_add_u32_e32 v8, 0x1000000, v5
	v_sub_u32_e32 v6, v9, v6
	v_ashrrev_i32_e32 v8, 8, v8
	v_add_u32_e32 v6, 0x3c000000, v6
	v_and_or_b32 v6, v8, s12, v6
	v_cmp_ne_u32_e32 vcc, 0, v5
	v_cndmask_b32_e32 v5, 0, v6, vcc
	s_brev_b32 s12, 1
	v_and_or_b32 v4, v4, s12, v5
.LBB17_1235:
	s_mov_b64 s[12:13], 0
.LBB17_1236:
	s_andn2_b64 vcc, exec, s[12:13]
	s_cbranch_vccnz .LBB17_1238
; %bb.1237:
	global_load_ubyte v4, v[1:2], off
	s_movk_i32 s12, 0x7f00
	s_brev_b32 s13, 16
	s_waitcnt vmcnt(0)
	v_lshlrev_b16_e32 v5, 8, v4
	v_lshlrev_b32_e32 v4, 25, v4
	v_lshrrev_b32_e32 v6, 4, v4
	v_and_or_b32 v8, v5, s12, 0.5
	v_or_b32_e32 v6, 0x70000000, v6
	v_add_f32_e32 v8, -0.5, v8
	v_mul_f32_e32 v6, 0x7800000, v6
	v_cmp_gt_u32_e32 vcc, s13, v4
	v_bfe_i32 v5, v5, 0, 16
	v_cndmask_b32_e32 v4, v6, v8, vcc
	s_brev_b32 s12, 1
	v_and_or_b32 v4, v5, s12, v4
.LBB17_1238:
	s_mov_b64 s[12:13], 0
	s_mov_b64 s[16:17], -1
.LBB17_1239:
	s_andn2_b64 vcc, exec, s[12:13]
	s_mov_b64 s[12:13], 0
	s_cbranch_vccnz .LBB17_1250
; %bb.1240:
	s_cmp_gt_i32 s22, 14
	s_cbranch_scc0 .LBB17_1243
; %bb.1241:
	s_cmp_eq_u32 s22, 15
	s_cbranch_scc0 .LBB17_1246
; %bb.1242:
	global_load_ushort v4, v[1:2], off
	s_mov_b64 s[0:1], 0
	s_mov_b64 s[16:17], -1
	s_waitcnt vmcnt(0)
	v_lshlrev_b32_e32 v4, 16, v4
	s_branch .LBB17_1247
.LBB17_1243:
	s_mov_b64 s[18:19], -1
                                        ; implicit-def: $vgpr4
	s_branch .LBB17_1248
.LBB17_1244:
	s_or_saveexec_b64 s[16:17], s[16:17]
	v_mov_b32_e32 v4, 0x7f800001
	s_xor_b64 exec, exec, s[16:17]
	s_cbranch_execz .LBB17_1225
.LBB17_1245:
	v_cmp_ne_u16_e32 vcc, 0, v5
	s_andn2_b64 s[12:13], s[12:13], exec
	s_and_b64 s[18:19], vcc, exec
	v_mov_b32_e32 v4, 0
	s_or_b64 s[12:13], s[12:13], s[18:19]
	s_or_b64 exec, exec, s[16:17]
	s_and_saveexec_b64 s[16:17], s[12:13]
	s_cbranch_execnz .LBB17_1226
	s_branch .LBB17_1227
.LBB17_1246:
	s_mov_b64 s[0:1], -1
                                        ; implicit-def: $vgpr4
.LBB17_1247:
	s_mov_b64 s[18:19], 0
.LBB17_1248:
	s_and_b64 vcc, exec, s[18:19]
	s_cbranch_vccz .LBB17_1250
; %bb.1249:
	s_cmp_lg_u32 s22, 11
	s_mov_b64 s[12:13], -1
	s_cselect_b64 s[0:1], -1, 0
.LBB17_1250:
	s_and_b64 vcc, exec, s[0:1]
	s_cbranch_vccnz .LBB17_1317
; %bb.1251:
	s_andn2_b64 vcc, exec, s[12:13]
	s_cbranch_vccnz .LBB17_1253
.LBB17_1252:
	global_load_ubyte v4, v[1:2], off
	s_mov_b64 s[16:17], -1
	s_waitcnt vmcnt(0)
	v_cmp_ne_u16_e32 vcc, 0, v4
	v_cndmask_b32_e64 v4, 0, 1.0, vcc
.LBB17_1253:
	s_branch .LBB17_1180
.LBB17_1254:
	s_cmp_lt_i32 s22, 5
	s_cbranch_scc1 .LBB17_1259
; %bb.1255:
	s_cmp_lt_i32 s22, 8
	s_cbranch_scc1 .LBB17_1260
; %bb.1256:
	;; [unrolled: 3-line block ×3, first 2 shown]
	s_cmp_gt_i32 s22, 9
	s_cbranch_scc0 .LBB17_1262
; %bb.1258:
	global_load_dwordx2 v[4:5], v[1:2], off
	s_mov_b64 s[0:1], 0
	s_waitcnt vmcnt(0)
	v_cvt_f32_f64_e32 v4, v[4:5]
	s_branch .LBB17_1263
.LBB17_1259:
                                        ; implicit-def: $vgpr4
	s_branch .LBB17_1281
.LBB17_1260:
	s_mov_b64 s[0:1], -1
                                        ; implicit-def: $vgpr4
	s_branch .LBB17_1269
.LBB17_1261:
	s_mov_b64 s[0:1], -1
                                        ; implicit-def: $vgpr4
	s_branch .LBB17_1266
.LBB17_1262:
	s_mov_b64 s[0:1], -1
                                        ; implicit-def: $vgpr4
.LBB17_1263:
	s_andn2_b64 vcc, exec, s[0:1]
	s_cbranch_vccnz .LBB17_1265
; %bb.1264:
	global_load_dword v4, v[1:2], off
.LBB17_1265:
	s_mov_b64 s[0:1], 0
.LBB17_1266:
	s_andn2_b64 vcc, exec, s[0:1]
	s_cbranch_vccnz .LBB17_1268
; %bb.1267:
	global_load_dword v4, v[1:2], off
	s_waitcnt vmcnt(0)
	v_cvt_f32_f16_e32 v4, v4
.LBB17_1268:
	s_mov_b64 s[0:1], 0
.LBB17_1269:
	s_andn2_b64 vcc, exec, s[0:1]
	s_cbranch_vccnz .LBB17_1280
; %bb.1270:
	s_cmp_lt_i32 s22, 6
	s_cbranch_scc1 .LBB17_1273
; %bb.1271:
	s_cmp_gt_i32 s22, 6
	s_cbranch_scc0 .LBB17_1274
; %bb.1272:
	global_load_dwordx2 v[4:5], v[1:2], off
	s_mov_b64 s[0:1], 0
	s_waitcnt vmcnt(0)
	v_cvt_f32_f64_e32 v4, v[4:5]
	s_branch .LBB17_1275
.LBB17_1273:
	s_mov_b64 s[0:1], -1
                                        ; implicit-def: $vgpr4
	s_branch .LBB17_1278
.LBB17_1274:
	s_mov_b64 s[0:1], -1
                                        ; implicit-def: $vgpr4
.LBB17_1275:
	s_andn2_b64 vcc, exec, s[0:1]
	s_cbranch_vccnz .LBB17_1277
; %bb.1276:
	global_load_dword v4, v[1:2], off
.LBB17_1277:
	s_mov_b64 s[0:1], 0
.LBB17_1278:
	s_andn2_b64 vcc, exec, s[0:1]
	s_cbranch_vccnz .LBB17_1280
; %bb.1279:
	global_load_ushort v4, v[1:2], off
	s_waitcnt vmcnt(0)
	v_cvt_f32_f16_e32 v4, v4
.LBB17_1280:
	s_cbranch_execnz .LBB17_1300
.LBB17_1281:
	s_cmp_lt_i32 s22, 2
	s_cbranch_scc1 .LBB17_1285
; %bb.1282:
	s_cmp_lt_i32 s22, 3
	s_cbranch_scc1 .LBB17_1286
; %bb.1283:
	s_cmp_gt_i32 s22, 3
	s_cbranch_scc0 .LBB17_1287
; %bb.1284:
	global_load_dwordx2 v[4:5], v[1:2], off
	s_mov_b64 s[0:1], 0
	s_waitcnt vmcnt(0)
	v_xor_b32_e32 v8, v4, v5
	v_ffbh_i32_e32 v6, v5
	v_ashrrev_i32_e32 v8, 31, v8
	v_add_u32_e32 v6, -1, v6
	v_add_u32_e32 v8, 32, v8
	v_min_u32_e32 v6, v6, v8
	v_lshlrev_b64 v[4:5], v6, v[4:5]
	v_min_u32_e32 v4, 1, v4
	v_or_b32_e32 v4, v5, v4
	v_cvt_f32_i32_e32 v4, v4
	v_sub_u32_e32 v5, 32, v6
	v_ldexp_f32 v4, v4, v5
	s_branch .LBB17_1288
.LBB17_1285:
	s_mov_b64 s[0:1], -1
                                        ; implicit-def: $vgpr4
	s_branch .LBB17_1294
.LBB17_1286:
	s_mov_b64 s[0:1], -1
                                        ; implicit-def: $vgpr4
	s_branch .LBB17_1291
.LBB17_1287:
	s_mov_b64 s[0:1], -1
                                        ; implicit-def: $vgpr4
.LBB17_1288:
	s_andn2_b64 vcc, exec, s[0:1]
	s_cbranch_vccnz .LBB17_1290
; %bb.1289:
	global_load_dword v4, v[1:2], off
	s_waitcnt vmcnt(0)
	v_cvt_f32_i32_e32 v4, v4
.LBB17_1290:
	s_mov_b64 s[0:1], 0
.LBB17_1291:
	s_andn2_b64 vcc, exec, s[0:1]
	s_cbranch_vccnz .LBB17_1293
; %bb.1292:
	global_load_sshort v4, v[1:2], off
	s_waitcnt vmcnt(0)
	v_cvt_f32_i32_e32 v4, v4
.LBB17_1293:
	s_mov_b64 s[0:1], 0
.LBB17_1294:
	s_andn2_b64 vcc, exec, s[0:1]
	s_cbranch_vccnz .LBB17_1300
; %bb.1295:
	s_cmp_gt_i32 s22, 0
	s_cbranch_scc0 .LBB17_1297
; %bb.1296:
	global_load_sbyte v4, v[1:2], off
	s_mov_b64 s[0:1], 0
	s_waitcnt vmcnt(0)
	v_cvt_f32_i32_e32 v4, v4
	s_branch .LBB17_1298
.LBB17_1297:
	s_mov_b64 s[0:1], -1
                                        ; implicit-def: $vgpr4
.LBB17_1298:
	s_andn2_b64 vcc, exec, s[0:1]
	s_cbranch_vccnz .LBB17_1300
; %bb.1299:
	global_load_ubyte v1, v[1:2], off
	s_waitcnt vmcnt(0)
	v_cvt_f32_ubyte0_e32 v4, v1
.LBB17_1300:
.LBB17_1301:
	s_mov_b32 s0, 0x41000000
	s_waitcnt vmcnt(0)
	v_cmp_le_f32_e64 s[0:1], |v4|, s0
                                        ; implicit-def: $vgpr2
	s_and_saveexec_b64 s[12:13], s[0:1]
	s_xor_b64 s[0:1], exec, s[12:13]
	s_cbranch_execz .LBB17_1303
; %bb.1302:
	v_fma_f32 v1, |v4|, 0.5, -2.0
	v_mov_b32_e32 v2, 0x24199b15
	v_fmac_f32_e32 v2, 0xa2a2e5b9, v1
	v_mov_b32_e32 v5, 0x22a2e5b9
	v_fmac_f32_e32 v5, v1, v2
	v_add_f32_e32 v5, 0xa58c275c, v5
	v_fma_f32 v2, v1, v5, -v2
	v_add_f32_e32 v2, 0x26f736c5, v2
	v_fma_f32 v5, v1, v2, -v5
	v_add_f32_e32 v5, 0xa8528116, v5
	v_fma_f32 v2, v1, v5, -v2
	v_add_f32_e32 v2, 0x29acda32, v2
	v_fma_f32 v5, v1, v2, -v5
	v_add_f32_e32 v5, 0xab08b263, v5
	v_fma_f32 v2, v1, v5, -v2
	v_add_f32_e32 v2, 0x2c4ff17f, v2
	v_fma_f32 v5, v1, v2, -v5
	v_add_f32_e32 v5, 0xad97e4ac, v5
	v_fma_f32 v2, v1, v5, -v2
	v_add_f32_e32 v2, 0x2ed4c5f6, v2
	v_fma_f32 v5, v1, v2, -v5
	v_add_f32_e32 v5, 0xb00ea7f1, v5
	v_fma_f32 v2, v1, v5, -v2
	v_add_f32_e32 v2, 0x3136c81d, v2
	v_fma_f32 v5, v1, v2, -v5
	v_add_f32_e32 v5, 0xb25f57b4, v5
	v_fma_f32 v2, v1, v5, -v2
	v_add_f32_e32 v2, 0x3381dbb5, v2
	v_fma_f32 v5, v1, v2, -v5
	v_add_f32_e32 v5, 0xb48f631c, v5
	v_fma_f32 v2, v1, v5, -v2
	v_add_f32_e32 v2, 0x3595f925, v2
	v_fma_f32 v5, v1, v2, -v5
	v_add_f32_e32 v5, 0xb694337e, v5
	v_fma_f32 v2, v1, v5, -v2
	v_add_f32_e32 v2, 0x3789fac6, v2
	v_fma_f32 v5, v1, v2, -v5
	v_add_f32_e32 v5, 0xb8715933, v5
	v_fma_f32 v2, v1, v5, -v2
	v_add_f32_e32 v2, 0x3945a8dc, v2
	v_fma_f32 v5, v1, v2, -v5
	v_add_f32_e32 v5, 0xba1717e9, v5
	v_fma_f32 v2, v1, v5, -v2
	v_add_f32_e32 v2, 0x3ad6e3ac, v2
	v_fma_f32 v5, v1, v2, -v5
	v_add_f32_e32 v5, 0xbb8db2f1, v5
	v_fma_f32 v2, v1, v5, -v2
	v_add_f32_e32 v2, 0x3c2ccb10, v2
	v_fma_f32 v5, v1, v2, -v5
	v_add_f32_e32 v5, 0xbcc274f8, v5
	s_mov_b32 s12, 0x3fb8aa3b
	v_fma_f32 v2, v1, v5, -v2
	v_mul_f32_e64 v6, |v4|, s12
	v_add_f32_e32 v2, 0x3d49f456, v2
	v_rndne_f32_e32 v8, v6
	v_fma_f32 v5, v1, v2, -v5
	v_sub_f32_e32 v9, v6, v8
	v_fma_f32 v6, |v4|, s12, -v6
	s_mov_b32 s12, 0x32a5705f
	v_add_f32_e32 v5, 0xbdc25b82, v5
	v_fma_f32 v6, |v4|, s12, v6
	v_fma_f32 v2, v1, v5, -v2
	v_add_f32_e32 v6, v9, v6
	v_add_f32_e32 v2, 0x3e2fbd64, v2
	v_exp_f32_e32 v6, v6
	v_cvt_i32_f32_e32 v8, v8
	v_fma_f32 v5, v1, v2, -v5
	v_add_f32_e32 v5, 0xbe9bff5e, v5
	v_fma_f32 v1, v1, v5, -v2
	s_mov_b32 s12, 0xc2ce8ed0
	v_add_f32_e32 v1, 0x3f2d4275, v1
	v_ldexp_f32 v5, v6, v8
	v_cmp_nlt_f32_e64 vcc, |v4|, s12
	s_mov_b32 s12, 0x42b17218
	v_cndmask_b32_e32 v5, 0, v5, vcc
	v_mov_b32_e32 v6, 0x7f800000
	v_cmp_ngt_f32_e64 vcc, |v4|, s12
	v_sub_f32_e32 v1, v1, v2
	v_cndmask_b32_e32 v4, v6, v5, vcc
	v_mul_f32_e32 v1, 0.5, v1
	v_mul_f32_e32 v2, v4, v1
                                        ; implicit-def: $vgpr4
.LBB17_1303:
	s_andn2_saveexec_b64 s[12:13], s[0:1]
	s_cbranch_execz .LBB17_1305
; %bb.1304:
	v_and_b32_e32 v1, 0x7fffffff, v4
	s_mov_b32 s16, 0x42000000
	v_div_scale_f32 v2, s[0:1], v1, v1, s16
	v_div_scale_f32 v1, vcc, s16, v1, s16
	s_mov_b32 s0, 0x3fb8aa3b
	v_mul_f32_e64 v8, |v4|, s0
	s_mov_b32 s1, 0x32a5705f
	v_rndne_f32_e32 v11, v8
	v_fma_f32 v12, |v4|, s0, -v8
	s_mov_b32 s19, 0xf800000
	s_mov_b32 s20, 0x4f800000
	v_sub_f32_e32 v8, v8, v11
	v_mul_f32_e64 v10, |v4|, s20
	v_mov_b32_e32 v5, 0xa2b236d3
	v_mov_b32_e32 v6, 0x23056dbb
	s_mov_b32 s17, 0xc2ce8ed0
	v_rcp_f32_e32 v9, v2
	s_mov_b32 s18, 0x42b17218
	v_fma_f32 v13, -v2, v9, 1.0
	v_fmac_f32_e32 v9, v13, v9
	v_mul_f32_e32 v13, v1, v9
	v_fma_f32 v14, -v2, v13, v1
	v_fmac_f32_e32 v13, v14, v9
	v_fma_f32 v1, -v2, v13, v1
	v_div_fmas_f32 v1, v1, v9, v13
	v_fma_f32 v9, |v4|, s1, v12
	v_cmp_lt_f32_e64 vcc, |v4|, s19
	v_add_f32_e32 v8, v8, v9
	v_cndmask_b32_e64 v2, |v4|, v10, vcc
	v_cvt_i32_f32_e32 v10, v11
	v_exp_f32_e32 v8, v8
	v_cmp_nlt_f32_e64 s[0:1], |v4|, s17
	v_sqrt_f32_e32 v11, v2
	v_mov_b32_e32 v9, 0x7f800000
	v_ldexp_f32 v8, v8, v10
	v_cndmask_b32_e64 v8, 0, v8, s[0:1]
	v_cmp_ngt_f32_e64 s[0:1], |v4|, s18
	v_add_u32_e32 v12, -1, v11
	v_fma_f32 v13, -v12, v11, v2
	v_cndmask_b32_e64 v8, v9, v8, s[0:1]
	v_div_fixup_f32 v1, v1, |v4|, s16
	v_add_f32_e32 v1, -2.0, v1
	v_fmac_f32_e32 v5, 0xa3056dbb, v1
	v_fmac_f32_e32 v6, v1, v5
	v_add_f32_e32 v4, 0x244df0c1, v6
	v_fma_f32 v5, v1, v4, -v5
	v_add_f32_e32 v5, 0x241f9ee8, v5
	v_fma_f32 v4, v1, v5, -v4
	;; [unrolled: 2-line block ×22, first 2 shown]
	v_add_u32_e32 v5, 1, v11
	v_add_f32_e32 v1, 0x3f4df315, v1
	v_cmp_ge_f32_e64 s[0:1], 0, v13
	v_fma_f32 v6, -v5, v11, v2
	v_sub_f32_e32 v1, v1, v4
	v_cndmask_b32_e64 v4, v11, v12, s[0:1]
	v_cmp_lt_f32_e64 s[0:1], 0, v6
	v_cndmask_b32_e64 v4, v4, v5, s[0:1]
	v_mul_f32_e32 v5, 0x37800000, v4
	v_cndmask_b32_e32 v4, v4, v5, vcc
	v_mov_b32_e32 v5, 0x260
	v_mul_f32_e32 v1, 0.5, v1
	v_cmp_class_f32_e32 vcc, v2, v5
	v_mul_f32_e32 v1, v8, v1
	v_cndmask_b32_e32 v2, v4, v2, vcc
	v_div_scale_f32 v4, s[0:1], v2, v2, v1
	v_div_scale_f32 v5, vcc, v1, v2, v1
	v_rcp_f32_e32 v6, v4
	v_fma_f32 v8, -v4, v6, 1.0
	v_fmac_f32_e32 v6, v8, v6
	v_mul_f32_e32 v8, v5, v6
	v_fma_f32 v9, -v4, v8, v5
	v_fmac_f32_e32 v8, v9, v6
	v_fma_f32 v4, -v4, v8, v5
	v_div_fmas_f32 v4, v4, v6, v8
	v_div_fixup_f32 v2, v4, v2, v1
.LBB17_1305:
	s_or_b64 exec, exec, s[12:13]
	v_add_u32_e32 v1, s3, v3
	v_ashrrev_i32_e32 v4, 31, v1
	v_mov_b32_e32 v5, s11
	v_add_co_u32_e32 v3, vcc, s10, v1
	s_cmp_lt_i32 s22, 11
	v_addc_co_u32_e32 v4, vcc, v5, v4, vcc
	s_cbranch_scc1 .LBB17_1312
; %bb.1306:
	s_cmp_gt_i32 s22, 25
	s_mov_b64 s[12:13], 0
	s_cbranch_scc0 .LBB17_1314
; %bb.1307:
	s_cmp_gt_i32 s22, 28
	s_cbranch_scc0 .LBB17_1315
; %bb.1308:
	s_cmp_gt_i32 s22, 43
	;; [unrolled: 3-line block ×3, first 2 shown]
	s_cbranch_scc0 .LBB17_1318
; %bb.1310:
	s_cmp_eq_u32 s22, 46
	s_mov_b64 s[18:19], 0
	s_cbranch_scc0 .LBB17_1319
; %bb.1311:
	global_load_dword v5, v[3:4], off
	s_mov_b64 s[0:1], 0
	s_mov_b64 s[16:17], -1
	s_waitcnt vmcnt(0)
	v_lshlrev_b32_e32 v5, 16, v5
	s_branch .LBB17_1320
.LBB17_1312:
	s_mov_b64 s[16:17], 0
                                        ; implicit-def: $vgpr5
	s_cbranch_execnz .LBB17_1386
.LBB17_1313:
	s_andn2_b64 vcc, exec, s[16:17]
	s_cbranch_vccnz .LBB17_1650
	s_branch .LBB17_1434
.LBB17_1314:
	s_mov_b64 s[18:19], -1
	s_mov_b64 s[16:17], 0
	s_mov_b64 s[0:1], 0
                                        ; implicit-def: $vgpr5
	s_branch .LBB17_1349
.LBB17_1315:
	s_mov_b64 s[18:19], -1
	s_mov_b64 s[16:17], 0
	s_mov_b64 s[0:1], 0
                                        ; implicit-def: $vgpr5
	s_branch .LBB17_1330
.LBB17_1316:
	s_mov_b64 s[18:19], -1
	s_mov_b64 s[16:17], 0
	s_mov_b64 s[0:1], 0
                                        ; implicit-def: $vgpr5
	s_branch .LBB17_1325
.LBB17_1317:
	s_trap 2
	s_or_b64 s[14:15], s[14:15], exec
	s_cbranch_execz .LBB17_1252
	s_branch .LBB17_1253
.LBB17_1318:
	s_mov_b64 s[18:19], -1
	s_mov_b64 s[16:17], 0
	s_mov_b64 s[0:1], 0
                                        ; implicit-def: $vgpr5
	s_branch .LBB17_1320
.LBB17_1319:
	s_mov_b64 s[0:1], -1
                                        ; implicit-def: $vgpr5
	s_mov_b64 s[16:17], 0
.LBB17_1320:
	s_and_b64 vcc, exec, s[18:19]
	s_cbranch_vccz .LBB17_1324
; %bb.1321:
	s_cmp_eq_u32 s22, 44
	s_cbranch_scc0 .LBB17_1323
; %bb.1322:
	global_load_ubyte v5, v[3:4], off
	s_movk_i32 s16, 0xff
	v_mov_b32_e32 v6, 0x7f800001
	v_mov_b32_e32 v8, 0x400000
	s_mov_b64 s[0:1], 0
	s_waitcnt vmcnt(0)
	v_lshlrev_b32_e32 v9, 23, v5
	v_cmp_ne_u32_e32 vcc, s16, v5
	v_cndmask_b32_e32 v6, v6, v9, vcc
	v_cmp_ne_u32_e32 vcc, 0, v5
	v_cndmask_b32_e32 v5, v8, v6, vcc
	s_mov_b64 s[16:17], -1
	s_branch .LBB17_1324
.LBB17_1323:
	s_mov_b64 s[0:1], -1
                                        ; implicit-def: $vgpr5
.LBB17_1324:
	s_mov_b64 s[18:19], 0
.LBB17_1325:
	s_and_b64 vcc, exec, s[18:19]
	s_cbranch_vccz .LBB17_1329
; %bb.1326:
	s_cmp_eq_u32 s22, 29
	s_cbranch_scc0 .LBB17_1328
; %bb.1327:
	global_load_dwordx2 v[5:6], v[3:4], off
	s_mov_b64 s[0:1], 0
	s_mov_b64 s[16:17], -1
	s_mov_b64 s[18:19], 0
	s_waitcnt vmcnt(0)
	v_ffbh_u32_e32 v8, v6
	v_min_u32_e32 v8, 32, v8
	v_lshlrev_b64 v[5:6], v8, v[5:6]
	v_min_u32_e32 v5, 1, v5
	v_or_b32_e32 v5, v6, v5
	v_cvt_f32_u32_e32 v5, v5
	v_sub_u32_e32 v6, 32, v8
	v_ldexp_f32 v5, v5, v6
	s_branch .LBB17_1330
.LBB17_1328:
	s_mov_b64 s[0:1], -1
                                        ; implicit-def: $vgpr5
.LBB17_1329:
	s_mov_b64 s[18:19], 0
.LBB17_1330:
	s_and_b64 vcc, exec, s[18:19]
	s_cbranch_vccz .LBB17_1348
; %bb.1331:
	s_cmp_lt_i32 s22, 27
	s_cbranch_scc1 .LBB17_1334
; %bb.1332:
	s_cmp_gt_i32 s22, 27
	s_cbranch_scc0 .LBB17_1335
; %bb.1333:
	global_load_dword v5, v[3:4], off
	s_mov_b64 s[16:17], 0
	s_waitcnt vmcnt(0)
	v_cvt_f32_u32_e32 v5, v5
	s_branch .LBB17_1336
.LBB17_1334:
	s_mov_b64 s[16:17], -1
                                        ; implicit-def: $vgpr5
	s_branch .LBB17_1339
.LBB17_1335:
	s_mov_b64 s[16:17], -1
                                        ; implicit-def: $vgpr5
.LBB17_1336:
	s_andn2_b64 vcc, exec, s[16:17]
	s_cbranch_vccnz .LBB17_1338
; %bb.1337:
	global_load_ushort v5, v[3:4], off
	s_waitcnt vmcnt(0)
	v_cvt_f32_u32_e32 v5, v5
.LBB17_1338:
	s_mov_b64 s[16:17], 0
.LBB17_1339:
	s_andn2_b64 vcc, exec, s[16:17]
	s_cbranch_vccnz .LBB17_1347
; %bb.1340:
	global_load_ubyte v6, v[3:4], off
	s_movk_i32 s16, 0x7f
	s_waitcnt vmcnt(0)
	v_cmp_lt_i16_e32 vcc, s16, v6
	s_mov_b64 s[16:17], 0
	s_and_saveexec_b64 s[18:19], vcc
	s_xor_b64 s[18:19], exec, s[18:19]
	s_cbranch_execz .LBB17_1361
; %bb.1341:
	s_movk_i32 s16, 0x80
	v_cmp_eq_u16_e32 vcc, s16, v6
	s_mov_b64 s[16:17], -1
	s_and_saveexec_b64 s[20:21], vcc
; %bb.1342:
	s_xor_b64 s[16:17], exec, -1
; %bb.1343:
	s_or_b64 exec, exec, s[20:21]
	s_and_b64 s[16:17], s[16:17], exec
	s_or_saveexec_b64 s[18:19], s[18:19]
	v_mov_b32_e32 v5, 0x7f800001
	s_xor_b64 exec, exec, s[18:19]
	s_cbranch_execnz .LBB17_1362
.LBB17_1344:
	s_or_b64 exec, exec, s[18:19]
	s_and_saveexec_b64 s[18:19], s[16:17]
	s_cbranch_execz .LBB17_1346
.LBB17_1345:
	v_lshlrev_b32_e32 v5, 24, v6
	v_and_b32_e32 v6, 0xffff, v6
	v_and_b32_e32 v8, 7, v6
	v_ffbh_u32_e32 v10, v8
	v_min_u32_e32 v10, 32, v10
	v_subrev_u32_e32 v11, 28, v10
	v_bfe_u32 v9, v6, 3, 4
	v_lshlrev_b32_e32 v6, v11, v6
	v_sub_u32_e32 v10, 29, v10
	v_and_b32_e32 v6, 7, v6
	v_cmp_eq_u32_e32 vcc, 0, v9
	v_cndmask_b32_e32 v9, v9, v10, vcc
	v_cndmask_b32_e32 v6, v8, v6, vcc
	v_mov_b32_e32 v8, 0x3b800000
	v_lshlrev_b32_e32 v6, 20, v6
	v_and_b32_e32 v5, 0x80000000, v5
	v_lshl_add_u32 v8, v9, 23, v8
	v_or3_b32 v5, v5, v8, v6
.LBB17_1346:
	s_or_b64 exec, exec, s[18:19]
.LBB17_1347:
	s_mov_b64 s[16:17], -1
.LBB17_1348:
	s_mov_b64 s[18:19], 0
.LBB17_1349:
	s_and_b64 vcc, exec, s[18:19]
	s_cbranch_vccz .LBB17_1382
; %bb.1350:
	s_cmp_gt_i32 s22, 22
	s_cbranch_scc0 .LBB17_1360
; %bb.1351:
	s_cmp_lt_i32 s22, 24
	s_cbranch_scc1 .LBB17_1363
; %bb.1352:
	s_cmp_gt_i32 s22, 24
	s_cbranch_scc0 .LBB17_1364
; %bb.1353:
	global_load_ubyte v6, v[3:4], off
	s_movk_i32 s12, 0x7f
	s_waitcnt vmcnt(0)
	v_cmp_lt_i16_e32 vcc, s12, v6
	s_mov_b64 s[12:13], 0
	s_and_saveexec_b64 s[16:17], vcc
	s_xor_b64 s[16:17], exec, s[16:17]
	s_cbranch_execz .LBB17_1376
; %bb.1354:
	s_movk_i32 s12, 0x80
	v_cmp_eq_u16_e32 vcc, s12, v6
	s_mov_b64 s[12:13], -1
	s_and_saveexec_b64 s[18:19], vcc
; %bb.1355:
	s_xor_b64 s[12:13], exec, -1
; %bb.1356:
	s_or_b64 exec, exec, s[18:19]
	s_and_b64 s[12:13], s[12:13], exec
	s_or_saveexec_b64 s[16:17], s[16:17]
	v_mov_b32_e32 v5, 0x7f800001
	s_xor_b64 exec, exec, s[16:17]
	s_cbranch_execnz .LBB17_1377
.LBB17_1357:
	s_or_b64 exec, exec, s[16:17]
	s_and_saveexec_b64 s[16:17], s[12:13]
	s_cbranch_execz .LBB17_1359
.LBB17_1358:
	v_lshlrev_b32_e32 v5, 24, v6
	v_and_b32_e32 v6, 0xffff, v6
	v_and_b32_e32 v8, 3, v6
	v_ffbh_u32_e32 v10, v8
	v_min_u32_e32 v10, 32, v10
	v_subrev_u32_e32 v11, 29, v10
	v_bfe_u32 v9, v6, 2, 5
	v_lshlrev_b32_e32 v6, v11, v6
	v_sub_u32_e32 v10, 30, v10
	v_and_b32_e32 v6, 3, v6
	v_cmp_eq_u32_e32 vcc, 0, v9
	v_cndmask_b32_e32 v9, v9, v10, vcc
	v_cndmask_b32_e32 v6, v8, v6, vcc
	v_mov_b32_e32 v8, 0x37800000
	v_lshlrev_b32_e32 v6, 21, v6
	v_and_b32_e32 v5, 0x80000000, v5
	v_lshl_add_u32 v8, v9, 23, v8
	v_or3_b32 v5, v5, v8, v6
.LBB17_1359:
	s_or_b64 exec, exec, s[16:17]
	s_mov_b64 s[12:13], 0
	s_branch .LBB17_1365
.LBB17_1360:
	s_mov_b64 s[12:13], -1
                                        ; implicit-def: $vgpr5
	s_branch .LBB17_1371
.LBB17_1361:
	s_or_saveexec_b64 s[18:19], s[18:19]
	v_mov_b32_e32 v5, 0x7f800001
	s_xor_b64 exec, exec, s[18:19]
	s_cbranch_execz .LBB17_1344
.LBB17_1362:
	v_cmp_ne_u16_e32 vcc, 0, v6
	s_andn2_b64 s[16:17], s[16:17], exec
	s_and_b64 s[20:21], vcc, exec
	v_mov_b32_e32 v5, 0
	s_or_b64 s[16:17], s[16:17], s[20:21]
	s_or_b64 exec, exec, s[18:19]
	s_and_saveexec_b64 s[18:19], s[16:17]
	s_cbranch_execnz .LBB17_1345
	s_branch .LBB17_1346
.LBB17_1363:
	s_mov_b64 s[12:13], -1
                                        ; implicit-def: $vgpr5
	s_branch .LBB17_1368
.LBB17_1364:
	s_mov_b64 s[12:13], -1
                                        ; implicit-def: $vgpr5
.LBB17_1365:
	s_and_b64 vcc, exec, s[12:13]
	s_cbranch_vccz .LBB17_1367
; %bb.1366:
	global_load_ubyte v5, v[3:4], off
	s_mov_b32 s12, 0x7f800000
	s_waitcnt vmcnt(0)
	v_lshlrev_b32_e32 v5, 24, v5
	v_and_b32_e32 v6, 0x7f000000, v5
	v_ffbh_u32_e32 v8, v6
	v_min_u32_e32 v8, 32, v8
	v_sub_u32_e64 v8, v8, 4 clamp
	v_lshlrev_b32_e32 v10, v8, v6
	v_lshlrev_b32_e32 v8, 23, v8
	v_lshrrev_b32_e32 v10, 4, v10
	v_add_u32_e32 v9, 0x1000000, v6
	v_sub_u32_e32 v8, v10, v8
	v_ashrrev_i32_e32 v9, 8, v9
	v_add_u32_e32 v8, 0x3c000000, v8
	v_and_or_b32 v8, v9, s12, v8
	v_cmp_ne_u32_e32 vcc, 0, v6
	v_cndmask_b32_e32 v6, 0, v8, vcc
	s_brev_b32 s12, 1
	v_and_or_b32 v5, v5, s12, v6
.LBB17_1367:
	s_mov_b64 s[12:13], 0
.LBB17_1368:
	s_andn2_b64 vcc, exec, s[12:13]
	s_cbranch_vccnz .LBB17_1370
; %bb.1369:
	global_load_ubyte v5, v[3:4], off
	s_movk_i32 s12, 0x7f00
	s_brev_b32 s13, 16
	s_waitcnt vmcnt(0)
	v_lshlrev_b16_e32 v6, 8, v5
	v_lshlrev_b32_e32 v5, 25, v5
	v_lshrrev_b32_e32 v8, 4, v5
	v_and_or_b32 v9, v6, s12, 0.5
	v_or_b32_e32 v8, 0x70000000, v8
	v_add_f32_e32 v9, -0.5, v9
	v_mul_f32_e32 v8, 0x7800000, v8
	v_cmp_gt_u32_e32 vcc, s13, v5
	v_bfe_i32 v6, v6, 0, 16
	v_cndmask_b32_e32 v5, v8, v9, vcc
	s_brev_b32 s12, 1
	v_and_or_b32 v5, v6, s12, v5
.LBB17_1370:
	s_mov_b64 s[12:13], 0
	s_mov_b64 s[16:17], -1
.LBB17_1371:
	s_andn2_b64 vcc, exec, s[12:13]
	s_mov_b64 s[12:13], 0
	s_cbranch_vccnz .LBB17_1382
; %bb.1372:
	s_cmp_gt_i32 s22, 14
	s_cbranch_scc0 .LBB17_1375
; %bb.1373:
	s_cmp_eq_u32 s22, 15
	s_cbranch_scc0 .LBB17_1378
; %bb.1374:
	global_load_ushort v5, v[3:4], off
	s_mov_b64 s[0:1], 0
	s_mov_b64 s[16:17], -1
	s_waitcnt vmcnt(0)
	v_lshlrev_b32_e32 v5, 16, v5
	s_branch .LBB17_1379
.LBB17_1375:
	s_mov_b64 s[18:19], -1
                                        ; implicit-def: $vgpr5
	s_branch .LBB17_1380
.LBB17_1376:
	s_or_saveexec_b64 s[16:17], s[16:17]
	v_mov_b32_e32 v5, 0x7f800001
	s_xor_b64 exec, exec, s[16:17]
	s_cbranch_execz .LBB17_1357
.LBB17_1377:
	v_cmp_ne_u16_e32 vcc, 0, v6
	s_andn2_b64 s[12:13], s[12:13], exec
	s_and_b64 s[18:19], vcc, exec
	v_mov_b32_e32 v5, 0
	s_or_b64 s[12:13], s[12:13], s[18:19]
	s_or_b64 exec, exec, s[16:17]
	s_and_saveexec_b64 s[16:17], s[12:13]
	s_cbranch_execnz .LBB17_1358
	s_branch .LBB17_1359
.LBB17_1378:
	s_mov_b64 s[0:1], -1
                                        ; implicit-def: $vgpr5
.LBB17_1379:
	s_mov_b64 s[18:19], 0
.LBB17_1380:
	s_and_b64 vcc, exec, s[18:19]
	s_cbranch_vccz .LBB17_1382
; %bb.1381:
	s_cmp_lg_u32 s22, 11
	s_mov_b64 s[12:13], -1
	s_cselect_b64 s[0:1], -1, 0
.LBB17_1382:
	s_and_b64 vcc, exec, s[0:1]
	s_cbranch_vccnz .LBB17_1449
; %bb.1383:
	s_andn2_b64 vcc, exec, s[12:13]
	s_cbranch_vccnz .LBB17_1385
.LBB17_1384:
	global_load_ubyte v5, v[3:4], off
	s_mov_b64 s[16:17], -1
	s_waitcnt vmcnt(0)
	v_cmp_ne_u16_e32 vcc, 0, v5
	v_cndmask_b32_e64 v5, 0, 1.0, vcc
.LBB17_1385:
	s_branch .LBB17_1313
.LBB17_1386:
	s_cmp_lt_i32 s22, 5
	s_cbranch_scc1 .LBB17_1391
; %bb.1387:
	s_cmp_lt_i32 s22, 8
	s_cbranch_scc1 .LBB17_1392
; %bb.1388:
	;; [unrolled: 3-line block ×3, first 2 shown]
	s_cmp_gt_i32 s22, 9
	s_cbranch_scc0 .LBB17_1394
; %bb.1390:
	global_load_dwordx2 v[5:6], v[3:4], off
	s_mov_b64 s[0:1], 0
	s_waitcnt vmcnt(0)
	v_cvt_f32_f64_e32 v5, v[5:6]
	s_branch .LBB17_1395
.LBB17_1391:
	s_mov_b64 s[0:1], -1
                                        ; implicit-def: $vgpr5
	s_branch .LBB17_1413
.LBB17_1392:
	s_mov_b64 s[0:1], -1
                                        ; implicit-def: $vgpr5
	s_branch .LBB17_1401
.LBB17_1393:
	s_mov_b64 s[0:1], -1
                                        ; implicit-def: $vgpr5
	s_branch .LBB17_1398
.LBB17_1394:
	s_mov_b64 s[0:1], -1
                                        ; implicit-def: $vgpr5
.LBB17_1395:
	s_andn2_b64 vcc, exec, s[0:1]
	s_cbranch_vccnz .LBB17_1397
; %bb.1396:
	global_load_dword v5, v[3:4], off
.LBB17_1397:
	s_mov_b64 s[0:1], 0
.LBB17_1398:
	s_andn2_b64 vcc, exec, s[0:1]
	s_cbranch_vccnz .LBB17_1400
; %bb.1399:
	global_load_dword v5, v[3:4], off
	s_waitcnt vmcnt(0)
	v_cvt_f32_f16_e32 v5, v5
.LBB17_1400:
	s_mov_b64 s[0:1], 0
.LBB17_1401:
	s_andn2_b64 vcc, exec, s[0:1]
	s_cbranch_vccnz .LBB17_1412
; %bb.1402:
	s_cmp_lt_i32 s22, 6
	s_cbranch_scc1 .LBB17_1405
; %bb.1403:
	s_cmp_gt_i32 s22, 6
	s_cbranch_scc0 .LBB17_1406
; %bb.1404:
	global_load_dwordx2 v[5:6], v[3:4], off
	s_mov_b64 s[0:1], 0
	s_waitcnt vmcnt(0)
	v_cvt_f32_f64_e32 v5, v[5:6]
	s_branch .LBB17_1407
.LBB17_1405:
	s_mov_b64 s[0:1], -1
                                        ; implicit-def: $vgpr5
	s_branch .LBB17_1410
.LBB17_1406:
	s_mov_b64 s[0:1], -1
                                        ; implicit-def: $vgpr5
.LBB17_1407:
	s_andn2_b64 vcc, exec, s[0:1]
	s_cbranch_vccnz .LBB17_1409
; %bb.1408:
	global_load_dword v5, v[3:4], off
.LBB17_1409:
	s_mov_b64 s[0:1], 0
.LBB17_1410:
	s_andn2_b64 vcc, exec, s[0:1]
	s_cbranch_vccnz .LBB17_1412
; %bb.1411:
	global_load_ushort v5, v[3:4], off
	s_waitcnt vmcnt(0)
	v_cvt_f32_f16_e32 v5, v5
.LBB17_1412:
	s_mov_b64 s[0:1], 0
.LBB17_1413:
	s_andn2_b64 vcc, exec, s[0:1]
	s_cbranch_vccnz .LBB17_1433
; %bb.1414:
	s_cmp_lt_i32 s22, 2
	s_cbranch_scc1 .LBB17_1418
; %bb.1415:
	s_cmp_lt_i32 s22, 3
	s_cbranch_scc1 .LBB17_1419
; %bb.1416:
	s_cmp_gt_i32 s22, 3
	s_cbranch_scc0 .LBB17_1420
; %bb.1417:
	global_load_dwordx2 v[5:6], v[3:4], off
	s_mov_b64 s[0:1], 0
	s_waitcnt vmcnt(0)
	v_xor_b32_e32 v9, v5, v6
	v_ffbh_i32_e32 v8, v6
	v_ashrrev_i32_e32 v9, 31, v9
	v_add_u32_e32 v8, -1, v8
	v_add_u32_e32 v9, 32, v9
	v_min_u32_e32 v8, v8, v9
	v_lshlrev_b64 v[5:6], v8, v[5:6]
	v_min_u32_e32 v5, 1, v5
	v_or_b32_e32 v5, v6, v5
	v_cvt_f32_i32_e32 v5, v5
	v_sub_u32_e32 v6, 32, v8
	v_ldexp_f32 v5, v5, v6
	s_branch .LBB17_1421
.LBB17_1418:
	s_mov_b64 s[0:1], -1
                                        ; implicit-def: $vgpr5
	s_branch .LBB17_1427
.LBB17_1419:
	s_mov_b64 s[0:1], -1
                                        ; implicit-def: $vgpr5
	s_branch .LBB17_1424
.LBB17_1420:
	s_mov_b64 s[0:1], -1
                                        ; implicit-def: $vgpr5
.LBB17_1421:
	s_andn2_b64 vcc, exec, s[0:1]
	s_cbranch_vccnz .LBB17_1423
; %bb.1422:
	global_load_dword v5, v[3:4], off
	s_waitcnt vmcnt(0)
	v_cvt_f32_i32_e32 v5, v5
.LBB17_1423:
	s_mov_b64 s[0:1], 0
.LBB17_1424:
	s_andn2_b64 vcc, exec, s[0:1]
	s_cbranch_vccnz .LBB17_1426
; %bb.1425:
	global_load_sshort v5, v[3:4], off
	s_waitcnt vmcnt(0)
	v_cvt_f32_i32_e32 v5, v5
.LBB17_1426:
	s_mov_b64 s[0:1], 0
.LBB17_1427:
	s_andn2_b64 vcc, exec, s[0:1]
	s_cbranch_vccnz .LBB17_1433
; %bb.1428:
	s_cmp_gt_i32 s22, 0
	s_cbranch_scc0 .LBB17_1430
; %bb.1429:
	global_load_sbyte v5, v[3:4], off
	s_mov_b64 s[0:1], 0
	s_waitcnt vmcnt(0)
	v_cvt_f32_i32_e32 v5, v5
	s_branch .LBB17_1431
.LBB17_1430:
	s_mov_b64 s[0:1], -1
                                        ; implicit-def: $vgpr5
.LBB17_1431:
	s_andn2_b64 vcc, exec, s[0:1]
	s_cbranch_vccnz .LBB17_1433
; %bb.1432:
	global_load_ubyte v3, v[3:4], off
	s_waitcnt vmcnt(0)
	v_cvt_f32_ubyte0_e32 v5, v3
.LBB17_1433:
.LBB17_1434:
	s_mov_b32 s0, 0x41000000
	s_waitcnt vmcnt(0)
	v_cmp_le_f32_e64 s[0:1], |v5|, s0
                                        ; implicit-def: $vgpr4
	s_and_saveexec_b64 s[12:13], s[0:1]
	s_xor_b64 s[0:1], exec, s[12:13]
	s_cbranch_execz .LBB17_1436
; %bb.1435:
	v_fma_f32 v3, |v5|, 0.5, -2.0
	v_mov_b32_e32 v4, 0x24199b15
	v_fmac_f32_e32 v4, 0xa2a2e5b9, v3
	v_mov_b32_e32 v6, 0x22a2e5b9
	v_fmac_f32_e32 v6, v3, v4
	v_add_f32_e32 v6, 0xa58c275c, v6
	v_fma_f32 v4, v3, v6, -v4
	v_add_f32_e32 v4, 0x26f736c5, v4
	v_fma_f32 v6, v3, v4, -v6
	v_add_f32_e32 v6, 0xa8528116, v6
	v_fma_f32 v4, v3, v6, -v4
	v_add_f32_e32 v4, 0x29acda32, v4
	v_fma_f32 v6, v3, v4, -v6
	v_add_f32_e32 v6, 0xab08b263, v6
	v_fma_f32 v4, v3, v6, -v4
	v_add_f32_e32 v4, 0x2c4ff17f, v4
	v_fma_f32 v6, v3, v4, -v6
	v_add_f32_e32 v6, 0xad97e4ac, v6
	v_fma_f32 v4, v3, v6, -v4
	v_add_f32_e32 v4, 0x2ed4c5f6, v4
	v_fma_f32 v6, v3, v4, -v6
	v_add_f32_e32 v6, 0xb00ea7f1, v6
	v_fma_f32 v4, v3, v6, -v4
	v_add_f32_e32 v4, 0x3136c81d, v4
	v_fma_f32 v6, v3, v4, -v6
	v_add_f32_e32 v6, 0xb25f57b4, v6
	v_fma_f32 v4, v3, v6, -v4
	v_add_f32_e32 v4, 0x3381dbb5, v4
	v_fma_f32 v6, v3, v4, -v6
	v_add_f32_e32 v6, 0xb48f631c, v6
	v_fma_f32 v4, v3, v6, -v4
	v_add_f32_e32 v4, 0x3595f925, v4
	v_fma_f32 v6, v3, v4, -v6
	v_add_f32_e32 v6, 0xb694337e, v6
	v_fma_f32 v4, v3, v6, -v4
	v_add_f32_e32 v4, 0x3789fac6, v4
	v_fma_f32 v6, v3, v4, -v6
	v_add_f32_e32 v6, 0xb8715933, v6
	v_fma_f32 v4, v3, v6, -v4
	v_add_f32_e32 v4, 0x3945a8dc, v4
	v_fma_f32 v6, v3, v4, -v6
	v_add_f32_e32 v6, 0xba1717e9, v6
	v_fma_f32 v4, v3, v6, -v4
	v_add_f32_e32 v4, 0x3ad6e3ac, v4
	v_fma_f32 v6, v3, v4, -v6
	v_add_f32_e32 v6, 0xbb8db2f1, v6
	v_fma_f32 v4, v3, v6, -v4
	v_add_f32_e32 v4, 0x3c2ccb10, v4
	v_fma_f32 v6, v3, v4, -v6
	v_add_f32_e32 v6, 0xbcc274f8, v6
	s_mov_b32 s12, 0x3fb8aa3b
	v_fma_f32 v4, v3, v6, -v4
	v_mul_f32_e64 v8, |v5|, s12
	v_add_f32_e32 v4, 0x3d49f456, v4
	v_rndne_f32_e32 v9, v8
	v_fma_f32 v6, v3, v4, -v6
	v_sub_f32_e32 v10, v8, v9
	v_fma_f32 v8, |v5|, s12, -v8
	s_mov_b32 s12, 0x32a5705f
	v_add_f32_e32 v6, 0xbdc25b82, v6
	v_fma_f32 v8, |v5|, s12, v8
	v_fma_f32 v4, v3, v6, -v4
	v_add_f32_e32 v8, v10, v8
	v_add_f32_e32 v4, 0x3e2fbd64, v4
	v_exp_f32_e32 v8, v8
	v_cvt_i32_f32_e32 v9, v9
	v_fma_f32 v6, v3, v4, -v6
	v_add_f32_e32 v6, 0xbe9bff5e, v6
	v_fma_f32 v3, v3, v6, -v4
	s_mov_b32 s12, 0xc2ce8ed0
	v_add_f32_e32 v3, 0x3f2d4275, v3
	v_ldexp_f32 v6, v8, v9
	v_cmp_nlt_f32_e64 vcc, |v5|, s12
	s_mov_b32 s12, 0x42b17218
	v_cndmask_b32_e32 v6, 0, v6, vcc
	v_mov_b32_e32 v8, 0x7f800000
	v_cmp_ngt_f32_e64 vcc, |v5|, s12
	v_sub_f32_e32 v3, v3, v4
	v_cndmask_b32_e32 v5, v8, v6, vcc
	v_mul_f32_e32 v3, 0.5, v3
	v_mul_f32_e32 v4, v5, v3
                                        ; implicit-def: $vgpr5
.LBB17_1436:
	s_andn2_saveexec_b64 s[12:13], s[0:1]
	s_cbranch_execz .LBB17_1438
; %bb.1437:
	v_and_b32_e32 v3, 0x7fffffff, v5
	s_mov_b32 s16, 0x42000000
	v_div_scale_f32 v4, s[0:1], v3, v3, s16
	v_div_scale_f32 v3, vcc, s16, v3, s16
	s_mov_b32 s0, 0x3fb8aa3b
	v_mul_f32_e64 v9, |v5|, s0
	s_mov_b32 s1, 0x32a5705f
	v_rndne_f32_e32 v12, v9
	v_fma_f32 v13, |v5|, s0, -v9
	s_mov_b32 s19, 0xf800000
	s_mov_b32 s20, 0x4f800000
	v_sub_f32_e32 v9, v9, v12
	v_mul_f32_e64 v11, |v5|, s20
	v_mov_b32_e32 v6, 0xa2b236d3
	v_mov_b32_e32 v8, 0x23056dbb
	s_mov_b32 s17, 0xc2ce8ed0
	v_rcp_f32_e32 v10, v4
	s_mov_b32 s18, 0x42b17218
	v_fma_f32 v14, -v4, v10, 1.0
	v_fmac_f32_e32 v10, v14, v10
	v_mul_f32_e32 v14, v3, v10
	v_fma_f32 v15, -v4, v14, v3
	v_fmac_f32_e32 v14, v15, v10
	v_fma_f32 v3, -v4, v14, v3
	v_div_fmas_f32 v3, v3, v10, v14
	v_fma_f32 v10, |v5|, s1, v13
	v_cmp_lt_f32_e64 vcc, |v5|, s19
	v_add_f32_e32 v9, v9, v10
	v_cndmask_b32_e64 v4, |v5|, v11, vcc
	v_cvt_i32_f32_e32 v11, v12
	v_exp_f32_e32 v9, v9
	v_cmp_nlt_f32_e64 s[0:1], |v5|, s17
	v_sqrt_f32_e32 v12, v4
	v_mov_b32_e32 v10, 0x7f800000
	v_ldexp_f32 v9, v9, v11
	v_cndmask_b32_e64 v9, 0, v9, s[0:1]
	v_cmp_ngt_f32_e64 s[0:1], |v5|, s18
	v_add_u32_e32 v13, -1, v12
	v_fma_f32 v14, -v13, v12, v4
	v_cndmask_b32_e64 v9, v10, v9, s[0:1]
	v_div_fixup_f32 v3, v3, |v5|, s16
	v_add_f32_e32 v3, -2.0, v3
	v_fmac_f32_e32 v6, 0xa3056dbb, v3
	v_fmac_f32_e32 v8, v3, v6
	v_add_f32_e32 v5, 0x244df0c1, v8
	v_fma_f32 v6, v3, v5, -v6
	v_add_f32_e32 v6, 0x241f9ee8, v6
	v_fma_f32 v5, v3, v6, -v5
	v_add_f32_e32 v5, 0xa5a3005d, v5
	v_fma_f32 v6, v3, v5, -v6
	v_add_f32_e32 v6, 0xa5c5773f, v6
	v_fma_f32 v5, v3, v6, -v5
	v_add_f32_e32 v5, 0x26ff73ed, v5
	v_fma_f32 v6, v3, v5, -v6
	v_add_f32_e32 v6, 0x2789548d, v6
	v_fma_f32 v5, v3, v6, -v5
	v_add_f32_e32 v5, 0xa82c1ff4, v5
	v_fma_f32 v6, v3, v5, -v6
	v_add_f32_e32 v6, 0xa93aecce, v6
	v_fma_f32 v5, v3, v6, -v5
	v_add_f32_e32 v5, 0x288ab7f8, v5
	v_fma_f32 v6, v3, v5, -v6
	v_add_f32_e32 v6, 0x2ad8e463, v6
	v_fma_f32 v5, v3, v6, -v5
	v_add_f32_e32 v5, 0x2b4a1a40, v5
	v_fma_f32 v6, v3, v5, -v6
	v_add_f32_e32 v6, 0xabfc8218, v6
	v_fma_f32 v5, v3, v6, -v5
	v_add_f32_e32 v5, 0xad687eba, v5
	v_fma_f32 v6, v3, v5, -v6
	v_add_f32_e32 v6, 0xae0a88e8, v6
	v_fma_f32 v5, v3, v6, -v5
	v_add_f32_e32 v5, 0x2d5127f5, v5
	v_fma_f32 v6, v3, v5, -v6
	v_add_f32_e32 v6, 0x3007ce66, v6
	v_fma_f32 v5, v3, v6, -v5
	v_add_f32_e32 v5, 0x31696325, v5
	v_fma_f32 v6, v3, v5, -v6
	v_add_f32_e32 v6, 0x32c2b494, v6
	v_fma_f32 v5, v3, v6, -v5
	v_add_f32_e32 v5, 0x345c003f, v5
	v_fma_f32 v6, v3, v5, -v6
	v_add_f32_e32 v6, 0x3642095e, v6
	v_fma_f32 v5, v3, v6, -v5
	v_add_f32_e32 v5, 0x38907d1c, v5
	v_fma_f32 v6, v3, v5, -v6
	v_add_f32_e32 v6, 0x3b5ccc65, v6
	v_fma_f32 v3, v3, v6, -v5
	v_add_u32_e32 v6, 1, v12
	v_add_f32_e32 v3, 0x3f4df315, v3
	v_cmp_ge_f32_e64 s[0:1], 0, v14
	v_fma_f32 v8, -v6, v12, v4
	v_sub_f32_e32 v3, v3, v5
	v_cndmask_b32_e64 v5, v12, v13, s[0:1]
	v_cmp_lt_f32_e64 s[0:1], 0, v8
	v_cndmask_b32_e64 v5, v5, v6, s[0:1]
	v_mul_f32_e32 v6, 0x37800000, v5
	v_cndmask_b32_e32 v5, v5, v6, vcc
	v_mov_b32_e32 v6, 0x260
	v_mul_f32_e32 v3, 0.5, v3
	v_cmp_class_f32_e32 vcc, v4, v6
	v_mul_f32_e32 v3, v9, v3
	v_cndmask_b32_e32 v4, v5, v4, vcc
	v_div_scale_f32 v5, s[0:1], v4, v4, v3
	v_div_scale_f32 v6, vcc, v3, v4, v3
	v_rcp_f32_e32 v8, v5
	v_fma_f32 v9, -v5, v8, 1.0
	v_fmac_f32_e32 v8, v9, v8
	v_mul_f32_e32 v9, v6, v8
	v_fma_f32 v10, -v5, v9, v6
	v_fmac_f32_e32 v9, v10, v8
	v_fma_f32 v5, -v5, v9, v6
	v_div_fmas_f32 v5, v5, v8, v9
	v_div_fixup_f32 v4, v5, v4, v3
.LBB17_1438:
	s_or_b64 exec, exec, s[12:13]
	v_add_u32_e32 v1, s3, v1
	v_ashrrev_i32_e32 v3, 31, v1
	v_mov_b32_e32 v6, s11
	v_add_co_u32_e32 v5, vcc, s10, v1
	s_cmp_lt_i32 s22, 11
	v_addc_co_u32_e32 v6, vcc, v6, v3, vcc
	s_cbranch_scc1 .LBB17_1445
; %bb.1439:
	s_cmp_gt_i32 s22, 25
	s_mov_b64 s[10:11], 0
	s_cbranch_scc0 .LBB17_1446
; %bb.1440:
	s_cmp_gt_i32 s22, 28
	s_cbranch_scc0 .LBB17_1447
; %bb.1441:
	s_cmp_gt_i32 s22, 43
	s_cbranch_scc0 .LBB17_1448
; %bb.1442:
	s_cmp_gt_i32 s22, 45
	s_cbranch_scc0 .LBB17_1450
; %bb.1443:
	s_cmp_eq_u32 s22, 46
	s_mov_b64 s[16:17], 0
	s_cbranch_scc0 .LBB17_1451
; %bb.1444:
	global_load_dword v1, v[5:6], off
	s_mov_b64 s[0:1], 0
	s_mov_b64 s[12:13], -1
	s_waitcnt vmcnt(0)
	v_lshlrev_b32_e32 v1, 16, v1
	s_branch .LBB17_1452
.LBB17_1445:
	s_mov_b64 s[0:1], -1
	s_mov_b64 s[12:13], 0
                                        ; implicit-def: $vgpr1
	s_branch .LBB17_1518
.LBB17_1446:
	s_mov_b64 s[16:17], -1
	s_mov_b64 s[12:13], 0
	s_mov_b64 s[0:1], 0
                                        ; implicit-def: $vgpr1
	s_branch .LBB17_1481
.LBB17_1447:
	s_mov_b64 s[16:17], -1
	s_mov_b64 s[12:13], 0
	s_mov_b64 s[0:1], 0
                                        ; implicit-def: $vgpr1
	s_branch .LBB17_1462
.LBB17_1448:
	s_mov_b64 s[16:17], -1
	s_mov_b64 s[12:13], 0
	s_mov_b64 s[0:1], 0
                                        ; implicit-def: $vgpr1
	s_branch .LBB17_1457
.LBB17_1449:
	s_trap 2
	s_or_b64 s[14:15], s[14:15], exec
	s_cbranch_execz .LBB17_1384
	s_branch .LBB17_1385
.LBB17_1450:
	s_mov_b64 s[16:17], -1
	s_mov_b64 s[12:13], 0
	s_mov_b64 s[0:1], 0
                                        ; implicit-def: $vgpr1
	s_branch .LBB17_1452
.LBB17_1451:
	s_mov_b64 s[0:1], -1
                                        ; implicit-def: $vgpr1
	s_mov_b64 s[12:13], 0
.LBB17_1452:
	s_and_b64 vcc, exec, s[16:17]
	s_cbranch_vccz .LBB17_1456
; %bb.1453:
	s_cmp_eq_u32 s22, 44
	s_cbranch_scc0 .LBB17_1455
; %bb.1454:
	global_load_ubyte v1, v[5:6], off
	s_movk_i32 s3, 0xff
	v_mov_b32_e32 v3, 0x7f800001
	v_mov_b32_e32 v8, 0x400000
	s_mov_b64 s[0:1], 0
	s_mov_b64 s[12:13], -1
	s_waitcnt vmcnt(0)
	v_lshlrev_b32_e32 v9, 23, v1
	v_cmp_ne_u32_e32 vcc, s3, v1
	v_cndmask_b32_e32 v3, v3, v9, vcc
	v_cmp_ne_u32_e32 vcc, 0, v1
	v_cndmask_b32_e32 v1, v8, v3, vcc
	s_branch .LBB17_1456
.LBB17_1455:
	s_mov_b64 s[0:1], -1
                                        ; implicit-def: $vgpr1
.LBB17_1456:
	s_mov_b64 s[16:17], 0
.LBB17_1457:
	s_and_b64 vcc, exec, s[16:17]
	s_cbranch_vccz .LBB17_1461
; %bb.1458:
	s_cmp_eq_u32 s22, 29
	s_cbranch_scc0 .LBB17_1460
; %bb.1459:
	global_load_dwordx2 v[8:9], v[5:6], off
	s_mov_b64 s[0:1], 0
	s_mov_b64 s[12:13], -1
	s_mov_b64 s[16:17], 0
	s_waitcnt vmcnt(0)
	v_ffbh_u32_e32 v1, v9
	v_min_u32_e32 v1, 32, v1
	v_lshlrev_b64 v[8:9], v1, v[8:9]
	v_sub_u32_e32 v1, 32, v1
	v_min_u32_e32 v3, 1, v8
	v_or_b32_e32 v3, v9, v3
	v_cvt_f32_u32_e32 v3, v3
	v_ldexp_f32 v1, v3, v1
	s_branch .LBB17_1462
.LBB17_1460:
	s_mov_b64 s[0:1], -1
                                        ; implicit-def: $vgpr1
.LBB17_1461:
	s_mov_b64 s[16:17], 0
.LBB17_1462:
	s_and_b64 vcc, exec, s[16:17]
	s_cbranch_vccz .LBB17_1480
; %bb.1463:
	s_cmp_lt_i32 s22, 27
	s_cbranch_scc1 .LBB17_1466
; %bb.1464:
	s_cmp_gt_i32 s22, 27
	s_cbranch_scc0 .LBB17_1467
; %bb.1465:
	global_load_dword v1, v[5:6], off
	s_mov_b64 s[12:13], 0
	s_waitcnt vmcnt(0)
	v_cvt_f32_u32_e32 v1, v1
	s_branch .LBB17_1468
.LBB17_1466:
	s_mov_b64 s[12:13], -1
                                        ; implicit-def: $vgpr1
	s_branch .LBB17_1471
.LBB17_1467:
	s_mov_b64 s[12:13], -1
                                        ; implicit-def: $vgpr1
.LBB17_1468:
	s_andn2_b64 vcc, exec, s[12:13]
	s_cbranch_vccnz .LBB17_1470
; %bb.1469:
	global_load_ushort v1, v[5:6], off
	s_waitcnt vmcnt(0)
	v_cvt_f32_u32_e32 v1, v1
.LBB17_1470:
	s_mov_b64 s[12:13], 0
.LBB17_1471:
	s_andn2_b64 vcc, exec, s[12:13]
	s_cbranch_vccnz .LBB17_1479
; %bb.1472:
	global_load_ubyte v3, v[5:6], off
	s_movk_i32 s3, 0x7f
	s_mov_b64 s[12:13], 0
	s_waitcnt vmcnt(0)
	v_cmp_lt_i16_e32 vcc, s3, v3
	s_and_saveexec_b64 s[16:17], vcc
	s_xor_b64 s[16:17], exec, s[16:17]
	s_cbranch_execz .LBB17_1493
; %bb.1473:
	s_movk_i32 s3, 0x80
	v_cmp_eq_u16_e32 vcc, s3, v3
	s_mov_b64 s[12:13], -1
	s_and_saveexec_b64 s[18:19], vcc
; %bb.1474:
	s_xor_b64 s[12:13], exec, -1
; %bb.1475:
	s_or_b64 exec, exec, s[18:19]
	s_and_b64 s[12:13], s[12:13], exec
	s_or_saveexec_b64 s[16:17], s[16:17]
	v_mov_b32_e32 v1, 0x7f800001
	s_xor_b64 exec, exec, s[16:17]
	s_cbranch_execnz .LBB17_1494
.LBB17_1476:
	s_or_b64 exec, exec, s[16:17]
	s_and_saveexec_b64 s[16:17], s[12:13]
	s_cbranch_execz .LBB17_1478
.LBB17_1477:
	v_lshlrev_b32_e32 v1, 24, v3
	v_and_b32_e32 v3, 0xffff, v3
	v_and_b32_e32 v8, 7, v3
	v_ffbh_u32_e32 v10, v8
	v_min_u32_e32 v10, 32, v10
	v_subrev_u32_e32 v11, 28, v10
	v_bfe_u32 v9, v3, 3, 4
	v_lshlrev_b32_e32 v3, v11, v3
	v_sub_u32_e32 v10, 29, v10
	v_and_b32_e32 v3, 7, v3
	v_cmp_eq_u32_e32 vcc, 0, v9
	v_cndmask_b32_e32 v9, v9, v10, vcc
	v_cndmask_b32_e32 v3, v8, v3, vcc
	v_mov_b32_e32 v8, 0x3b800000
	v_lshlrev_b32_e32 v3, 20, v3
	v_and_b32_e32 v1, 0x80000000, v1
	v_lshl_add_u32 v8, v9, 23, v8
	v_or3_b32 v1, v1, v8, v3
.LBB17_1478:
	s_or_b64 exec, exec, s[16:17]
.LBB17_1479:
	s_mov_b64 s[12:13], -1
.LBB17_1480:
	s_mov_b64 s[16:17], 0
.LBB17_1481:
	s_and_b64 vcc, exec, s[16:17]
	s_cbranch_vccz .LBB17_1514
; %bb.1482:
	s_cmp_gt_i32 s22, 22
	s_cbranch_scc0 .LBB17_1492
; %bb.1483:
	s_cmp_lt_i32 s22, 24
	s_cbranch_scc1 .LBB17_1495
; %bb.1484:
	s_cmp_gt_i32 s22, 24
	s_cbranch_scc0 .LBB17_1496
; %bb.1485:
	global_load_ubyte v3, v[5:6], off
	s_movk_i32 s3, 0x7f
	s_waitcnt vmcnt(0)
	v_cmp_lt_i16_e32 vcc, s3, v3
	s_and_saveexec_b64 s[12:13], vcc
	s_xor_b64 s[12:13], exec, s[12:13]
	s_cbranch_execz .LBB17_1508
; %bb.1486:
	s_movk_i32 s3, 0x80
	v_cmp_eq_u16_e32 vcc, s3, v3
	s_mov_b64 s[10:11], -1
	s_and_saveexec_b64 s[16:17], vcc
; %bb.1487:
	s_xor_b64 s[10:11], exec, -1
; %bb.1488:
	s_or_b64 exec, exec, s[16:17]
	s_and_b64 s[10:11], s[10:11], exec
	s_or_saveexec_b64 s[12:13], s[12:13]
	v_mov_b32_e32 v1, 0x7f800001
	s_xor_b64 exec, exec, s[12:13]
	s_cbranch_execnz .LBB17_1509
.LBB17_1489:
	s_or_b64 exec, exec, s[12:13]
	s_and_saveexec_b64 s[12:13], s[10:11]
	s_cbranch_execz .LBB17_1491
.LBB17_1490:
	v_lshlrev_b32_e32 v1, 24, v3
	v_and_b32_e32 v3, 0xffff, v3
	v_and_b32_e32 v8, 3, v3
	v_ffbh_u32_e32 v10, v8
	v_min_u32_e32 v10, 32, v10
	v_subrev_u32_e32 v11, 29, v10
	v_bfe_u32 v9, v3, 2, 5
	v_lshlrev_b32_e32 v3, v11, v3
	v_sub_u32_e32 v10, 30, v10
	v_and_b32_e32 v3, 3, v3
	v_cmp_eq_u32_e32 vcc, 0, v9
	v_cndmask_b32_e32 v9, v9, v10, vcc
	v_cndmask_b32_e32 v3, v8, v3, vcc
	v_mov_b32_e32 v8, 0x37800000
	v_lshlrev_b32_e32 v3, 21, v3
	v_and_b32_e32 v1, 0x80000000, v1
	v_lshl_add_u32 v8, v9, 23, v8
	v_or3_b32 v1, v1, v8, v3
.LBB17_1491:
	s_or_b64 exec, exec, s[12:13]
	s_mov_b64 s[10:11], 0
	s_branch .LBB17_1497
.LBB17_1492:
	s_mov_b64 s[10:11], -1
                                        ; implicit-def: $vgpr1
	s_branch .LBB17_1503
.LBB17_1493:
	s_or_saveexec_b64 s[16:17], s[16:17]
	v_mov_b32_e32 v1, 0x7f800001
	s_xor_b64 exec, exec, s[16:17]
	s_cbranch_execz .LBB17_1476
.LBB17_1494:
	v_cmp_ne_u16_e32 vcc, 0, v3
	s_andn2_b64 s[12:13], s[12:13], exec
	s_and_b64 s[18:19], vcc, exec
	v_mov_b32_e32 v1, 0
	s_or_b64 s[12:13], s[12:13], s[18:19]
	s_or_b64 exec, exec, s[16:17]
	s_and_saveexec_b64 s[16:17], s[12:13]
	s_cbranch_execnz .LBB17_1477
	s_branch .LBB17_1478
.LBB17_1495:
	s_mov_b64 s[10:11], -1
                                        ; implicit-def: $vgpr1
	s_branch .LBB17_1500
.LBB17_1496:
	s_mov_b64 s[10:11], -1
                                        ; implicit-def: $vgpr1
.LBB17_1497:
	s_and_b64 vcc, exec, s[10:11]
	s_cbranch_vccz .LBB17_1499
; %bb.1498:
	global_load_ubyte v1, v[5:6], off
	s_mov_b32 s3, 0x7f800000
	s_waitcnt vmcnt(0)
	v_lshlrev_b32_e32 v1, 24, v1
	v_and_b32_e32 v3, 0x7f000000, v1
	v_ffbh_u32_e32 v8, v3
	v_min_u32_e32 v8, 32, v8
	v_sub_u32_e64 v8, v8, 4 clamp
	v_lshlrev_b32_e32 v10, v8, v3
	v_lshlrev_b32_e32 v8, 23, v8
	v_lshrrev_b32_e32 v10, 4, v10
	v_add_u32_e32 v9, 0x1000000, v3
	v_sub_u32_e32 v8, v10, v8
	v_ashrrev_i32_e32 v9, 8, v9
	v_add_u32_e32 v8, 0x3c000000, v8
	v_and_or_b32 v8, v9, s3, v8
	v_cmp_ne_u32_e32 vcc, 0, v3
	v_cndmask_b32_e32 v3, 0, v8, vcc
	s_brev_b32 s3, 1
	v_and_or_b32 v1, v1, s3, v3
.LBB17_1499:
	s_mov_b64 s[10:11], 0
.LBB17_1500:
	s_andn2_b64 vcc, exec, s[10:11]
	s_cbranch_vccnz .LBB17_1502
; %bb.1501:
	global_load_ubyte v1, v[5:6], off
	s_movk_i32 s3, 0x7f00
	s_brev_b32 s10, 16
	s_waitcnt vmcnt(0)
	v_lshlrev_b16_e32 v3, 8, v1
	v_lshlrev_b32_e32 v1, 25, v1
	v_lshrrev_b32_e32 v8, 4, v1
	v_and_or_b32 v9, v3, s3, 0.5
	v_or_b32_e32 v8, 0x70000000, v8
	v_add_f32_e32 v9, -0.5, v9
	v_mul_f32_e32 v8, 0x7800000, v8
	v_cmp_gt_u32_e32 vcc, s10, v1
	v_bfe_i32 v3, v3, 0, 16
	v_cndmask_b32_e32 v1, v8, v9, vcc
	s_brev_b32 s3, 1
	v_and_or_b32 v1, v3, s3, v1
.LBB17_1502:
	s_mov_b64 s[10:11], 0
	s_mov_b64 s[12:13], -1
.LBB17_1503:
	s_andn2_b64 vcc, exec, s[10:11]
	s_mov_b64 s[10:11], 0
	s_cbranch_vccnz .LBB17_1514
; %bb.1504:
	s_cmp_gt_i32 s22, 14
	s_cbranch_scc0 .LBB17_1507
; %bb.1505:
	s_cmp_eq_u32 s22, 15
	s_cbranch_scc0 .LBB17_1510
; %bb.1506:
	global_load_ushort v1, v[5:6], off
	s_mov_b64 s[0:1], 0
	s_mov_b64 s[12:13], -1
	s_waitcnt vmcnt(0)
	v_lshlrev_b32_e32 v1, 16, v1
	s_branch .LBB17_1511
.LBB17_1507:
	s_mov_b64 s[16:17], -1
                                        ; implicit-def: $vgpr1
	s_branch .LBB17_1512
.LBB17_1508:
	s_or_saveexec_b64 s[12:13], s[12:13]
	v_mov_b32_e32 v1, 0x7f800001
	s_xor_b64 exec, exec, s[12:13]
	s_cbranch_execz .LBB17_1489
.LBB17_1509:
	v_cmp_ne_u16_e32 vcc, 0, v3
	s_andn2_b64 s[10:11], s[10:11], exec
	s_and_b64 s[16:17], vcc, exec
	v_mov_b32_e32 v1, 0
	s_or_b64 s[10:11], s[10:11], s[16:17]
	s_or_b64 exec, exec, s[12:13]
	s_and_saveexec_b64 s[12:13], s[10:11]
	s_cbranch_execnz .LBB17_1490
	s_branch .LBB17_1491
.LBB17_1510:
	s_mov_b64 s[0:1], -1
                                        ; implicit-def: $vgpr1
.LBB17_1511:
	s_mov_b64 s[16:17], 0
.LBB17_1512:
	s_and_b64 vcc, exec, s[16:17]
	s_cbranch_vccz .LBB17_1514
; %bb.1513:
	s_cmp_lg_u32 s22, 11
	s_mov_b64 s[10:11], -1
	s_cselect_b64 s[0:1], -1, 0
.LBB17_1514:
	s_and_b64 vcc, exec, s[0:1]
	s_cbranch_vccnz .LBB17_2053
; %bb.1515:
	s_andn2_b64 vcc, exec, s[10:11]
	s_cbranch_vccnz .LBB17_1517
.LBB17_1516:
	global_load_ubyte v1, v[5:6], off
	s_mov_b64 s[12:13], -1
	s_waitcnt vmcnt(0)
	v_cmp_ne_u16_e32 vcc, 0, v1
	v_cndmask_b32_e64 v1, 0, 1.0, vcc
.LBB17_1517:
	s_mov_b64 s[0:1], 0
.LBB17_1518:
	s_and_b64 vcc, exec, s[0:1]
	s_cbranch_vccz .LBB17_1567
; %bb.1519:
	s_cmp_lt_i32 s22, 5
	s_cbranch_scc1 .LBB17_1524
; %bb.1520:
	s_cmp_lt_i32 s22, 8
	s_cbranch_scc1 .LBB17_1525
	;; [unrolled: 3-line block ×3, first 2 shown]
; %bb.1522:
	s_cmp_gt_i32 s22, 9
	s_cbranch_scc0 .LBB17_1527
; %bb.1523:
	global_load_dwordx2 v[8:9], v[5:6], off
	s_mov_b64 s[0:1], 0
	s_waitcnt vmcnt(0)
	v_cvt_f32_f64_e32 v1, v[8:9]
	s_branch .LBB17_1528
.LBB17_1524:
	s_mov_b64 s[0:1], -1
                                        ; implicit-def: $vgpr1
	s_branch .LBB17_1546
.LBB17_1525:
	s_mov_b64 s[0:1], -1
                                        ; implicit-def: $vgpr1
	s_branch .LBB17_1534
.LBB17_1526:
	s_mov_b64 s[0:1], -1
                                        ; implicit-def: $vgpr1
	s_branch .LBB17_1531
.LBB17_1527:
	s_mov_b64 s[0:1], -1
                                        ; implicit-def: $vgpr1
.LBB17_1528:
	s_andn2_b64 vcc, exec, s[0:1]
	s_cbranch_vccnz .LBB17_1530
; %bb.1529:
	global_load_dword v1, v[5:6], off
.LBB17_1530:
	s_mov_b64 s[0:1], 0
.LBB17_1531:
	s_andn2_b64 vcc, exec, s[0:1]
	s_cbranch_vccnz .LBB17_1533
; %bb.1532:
	global_load_dword v1, v[5:6], off
	s_waitcnt vmcnt(0)
	v_cvt_f32_f16_e32 v1, v1
.LBB17_1533:
	s_mov_b64 s[0:1], 0
.LBB17_1534:
	s_andn2_b64 vcc, exec, s[0:1]
	s_cbranch_vccnz .LBB17_1545
; %bb.1535:
	s_cmp_lt_i32 s22, 6
	s_cbranch_scc1 .LBB17_1538
; %bb.1536:
	s_cmp_gt_i32 s22, 6
	s_cbranch_scc0 .LBB17_1539
; %bb.1537:
	global_load_dwordx2 v[8:9], v[5:6], off
	s_mov_b64 s[0:1], 0
	s_waitcnt vmcnt(0)
	v_cvt_f32_f64_e32 v1, v[8:9]
	s_branch .LBB17_1540
.LBB17_1538:
	s_mov_b64 s[0:1], -1
                                        ; implicit-def: $vgpr1
	s_branch .LBB17_1543
.LBB17_1539:
	s_mov_b64 s[0:1], -1
                                        ; implicit-def: $vgpr1
.LBB17_1540:
	s_andn2_b64 vcc, exec, s[0:1]
	s_cbranch_vccnz .LBB17_1542
; %bb.1541:
	global_load_dword v1, v[5:6], off
.LBB17_1542:
	s_mov_b64 s[0:1], 0
.LBB17_1543:
	s_andn2_b64 vcc, exec, s[0:1]
	s_cbranch_vccnz .LBB17_1545
; %bb.1544:
	global_load_ushort v1, v[5:6], off
	s_waitcnt vmcnt(0)
	v_cvt_f32_f16_e32 v1, v1
.LBB17_1545:
	s_mov_b64 s[0:1], 0
.LBB17_1546:
	s_andn2_b64 vcc, exec, s[0:1]
	s_cbranch_vccnz .LBB17_1566
; %bb.1547:
	s_cmp_lt_i32 s22, 2
	s_cbranch_scc1 .LBB17_1551
; %bb.1548:
	s_cmp_lt_i32 s22, 3
	s_cbranch_scc1 .LBB17_1552
; %bb.1549:
	s_cmp_gt_i32 s22, 3
	s_cbranch_scc0 .LBB17_1553
; %bb.1550:
	global_load_dwordx2 v[8:9], v[5:6], off
	s_mov_b64 s[0:1], 0
	s_waitcnt vmcnt(0)
	v_xor_b32_e32 v3, v8, v9
	v_ffbh_i32_e32 v1, v9
	v_ashrrev_i32_e32 v3, 31, v3
	v_add_u32_e32 v1, -1, v1
	v_add_u32_e32 v3, 32, v3
	v_min_u32_e32 v1, v1, v3
	v_lshlrev_b64 v[8:9], v1, v[8:9]
	v_sub_u32_e32 v1, 32, v1
	v_min_u32_e32 v3, 1, v8
	v_or_b32_e32 v3, v9, v3
	v_cvt_f32_i32_e32 v3, v3
	v_ldexp_f32 v1, v3, v1
	s_branch .LBB17_1554
.LBB17_1551:
	s_mov_b64 s[0:1], -1
                                        ; implicit-def: $vgpr1
	s_branch .LBB17_1560
.LBB17_1552:
	s_mov_b64 s[0:1], -1
                                        ; implicit-def: $vgpr1
	s_branch .LBB17_1557
.LBB17_1553:
	s_mov_b64 s[0:1], -1
                                        ; implicit-def: $vgpr1
.LBB17_1554:
	s_andn2_b64 vcc, exec, s[0:1]
	s_cbranch_vccnz .LBB17_1556
; %bb.1555:
	global_load_dword v1, v[5:6], off
	s_waitcnt vmcnt(0)
	v_cvt_f32_i32_e32 v1, v1
.LBB17_1556:
	s_mov_b64 s[0:1], 0
.LBB17_1557:
	s_andn2_b64 vcc, exec, s[0:1]
	s_cbranch_vccnz .LBB17_1559
; %bb.1558:
	global_load_sshort v1, v[5:6], off
	s_waitcnt vmcnt(0)
	v_cvt_f32_i32_e32 v1, v1
.LBB17_1559:
	s_mov_b64 s[0:1], 0
.LBB17_1560:
	s_andn2_b64 vcc, exec, s[0:1]
	s_cbranch_vccnz .LBB17_1566
; %bb.1561:
	s_cmp_gt_i32 s22, 0
	s_cbranch_scc0 .LBB17_1563
; %bb.1562:
	global_load_sbyte v1, v[5:6], off
	s_mov_b64 s[0:1], 0
	s_waitcnt vmcnt(0)
	v_cvt_f32_i32_e32 v1, v1
	s_branch .LBB17_1564
.LBB17_1563:
	s_mov_b64 s[0:1], -1
                                        ; implicit-def: $vgpr1
.LBB17_1564:
	s_andn2_b64 vcc, exec, s[0:1]
	s_cbranch_vccnz .LBB17_1566
; %bb.1565:
	global_load_ubyte v1, v[5:6], off
	s_waitcnt vmcnt(0)
	v_cvt_f32_ubyte0_e32 v1, v1
.LBB17_1566:
	s_mov_b64 s[12:13], -1
.LBB17_1567:
	s_andn2_b64 vcc, exec, s[12:13]
	s_cbranch_vccnz .LBB17_1650
; %bb.1568:
	s_mov_b32 s0, 0x41000000
	s_waitcnt vmcnt(0)
	v_cmp_le_f32_e64 s[0:1], |v1|, s0
                                        ; implicit-def: $vgpr6
	s_and_saveexec_b64 s[10:11], s[0:1]
	s_xor_b64 s[0:1], exec, s[10:11]
	s_cbranch_execz .LBB17_1570
; %bb.1569:
	v_fma_f32 v3, |v1|, 0.5, -2.0
	v_mov_b32_e32 v5, 0x24199b15
	v_fmac_f32_e32 v5, 0xa2a2e5b9, v3
	v_mov_b32_e32 v6, 0x22a2e5b9
	v_fmac_f32_e32 v6, v3, v5
	v_add_f32_e32 v6, 0xa58c275c, v6
	v_fma_f32 v5, v3, v6, -v5
	v_add_f32_e32 v5, 0x26f736c5, v5
	v_fma_f32 v6, v3, v5, -v6
	;; [unrolled: 2-line block ×22, first 2 shown]
	v_add_f32_e32 v6, 0xbcc274f8, v6
	s_mov_b32 s3, 0x3fb8aa3b
	v_fma_f32 v5, v3, v6, -v5
	v_mul_f32_e64 v8, |v1|, s3
	v_add_f32_e32 v5, 0x3d49f456, v5
	v_rndne_f32_e32 v9, v8
	v_fma_f32 v6, v3, v5, -v6
	v_sub_f32_e32 v10, v8, v9
	v_fma_f32 v8, |v1|, s3, -v8
	s_mov_b32 s3, 0x32a5705f
	v_add_f32_e32 v6, 0xbdc25b82, v6
	v_fma_f32 v8, |v1|, s3, v8
	v_fma_f32 v5, v3, v6, -v5
	v_add_f32_e32 v8, v10, v8
	v_add_f32_e32 v5, 0x3e2fbd64, v5
	v_exp_f32_e32 v8, v8
	v_cvt_i32_f32_e32 v9, v9
	v_fma_f32 v6, v3, v5, -v6
	v_add_f32_e32 v6, 0xbe9bff5e, v6
	v_fma_f32 v3, v3, v6, -v5
	s_mov_b32 s3, 0xc2ce8ed0
	v_add_f32_e32 v3, 0x3f2d4275, v3
	v_ldexp_f32 v6, v8, v9
	v_cmp_nlt_f32_e64 vcc, |v1|, s3
	s_mov_b32 s3, 0x42b17218
	v_cndmask_b32_e32 v6, 0, v6, vcc
	v_mov_b32_e32 v8, 0x7f800000
	v_cmp_ngt_f32_e64 vcc, |v1|, s3
	v_sub_f32_e32 v3, v3, v5
	v_cndmask_b32_e32 v1, v8, v6, vcc
	v_mul_f32_e32 v3, 0.5, v3
	v_mul_f32_e32 v6, v1, v3
                                        ; implicit-def: $vgpr1
.LBB17_1570:
	s_andn2_saveexec_b64 s[10:11], s[0:1]
	s_cbranch_execz .LBB17_1572
; %bb.1571:
	v_and_b32_e32 v3, 0x7fffffff, v1
	s_mov_b32 s3, 0x42000000
	v_div_scale_f32 v5, s[0:1], v3, v3, s3
	v_div_scale_f32 v3, vcc, s3, v3, s3
	s_mov_b32 s0, 0x3fb8aa3b
	v_mul_f32_e64 v9, |v1|, s0
	s_mov_b32 s1, 0x32a5705f
	v_rndne_f32_e32 v12, v9
	v_fma_f32 v13, |v1|, s0, -v9
	s_mov_b32 s16, 0xf800000
	s_mov_b32 s17, 0x4f800000
	v_sub_f32_e32 v9, v9, v12
	v_mul_f32_e64 v11, |v1|, s17
	s_mov_b32 s12, 0xc2ce8ed0
	s_mov_b32 s13, 0x42b17218
	v_mov_b32_e32 v6, 0xa2b236d3
	v_rcp_f32_e32 v10, v5
	v_mov_b32_e32 v8, 0x23056dbb
	v_fma_f32 v14, -v5, v10, 1.0
	v_fmac_f32_e32 v10, v14, v10
	v_mul_f32_e32 v14, v3, v10
	v_fma_f32 v15, -v5, v14, v3
	v_fmac_f32_e32 v14, v15, v10
	v_fma_f32 v3, -v5, v14, v3
	v_div_fmas_f32 v3, v3, v10, v14
	v_fma_f32 v10, |v1|, s1, v13
	v_cmp_lt_f32_e64 vcc, |v1|, s16
	v_add_f32_e32 v9, v9, v10
	v_cndmask_b32_e64 v5, |v1|, v11, vcc
	v_cvt_i32_f32_e32 v11, v12
	v_exp_f32_e32 v9, v9
	v_cmp_nlt_f32_e64 s[0:1], |v1|, s12
	v_sqrt_f32_e32 v12, v5
	v_mov_b32_e32 v10, 0x7f800000
	v_ldexp_f32 v9, v9, v11
	v_cndmask_b32_e64 v9, 0, v9, s[0:1]
	v_cmp_ngt_f32_e64 s[0:1], |v1|, s13
	v_add_u32_e32 v13, -1, v12
	v_fma_f32 v14, -v13, v12, v5
	v_cndmask_b32_e64 v9, v10, v9, s[0:1]
	v_div_fixup_f32 v1, v3, |v1|, s3
	v_add_f32_e32 v1, -2.0, v1
	v_fmac_f32_e32 v6, 0xa3056dbb, v1
	v_fmac_f32_e32 v8, v1, v6
	v_add_f32_e32 v3, 0x244df0c1, v8
	v_fma_f32 v6, v1, v3, -v6
	v_add_f32_e32 v6, 0x241f9ee8, v6
	v_fma_f32 v3, v1, v6, -v3
	;; [unrolled: 2-line block ×22, first 2 shown]
	v_add_u32_e32 v6, 1, v12
	v_add_f32_e32 v1, 0x3f4df315, v1
	v_cmp_ge_f32_e64 s[0:1], 0, v14
	v_fma_f32 v8, -v6, v12, v5
	v_sub_f32_e32 v1, v1, v3
	v_cndmask_b32_e64 v3, v12, v13, s[0:1]
	v_cmp_lt_f32_e64 s[0:1], 0, v8
	v_cndmask_b32_e64 v3, v3, v6, s[0:1]
	v_mul_f32_e32 v6, 0x37800000, v3
	v_cndmask_b32_e32 v3, v3, v6, vcc
	v_mov_b32_e32 v6, 0x260
	v_mul_f32_e32 v1, 0.5, v1
	v_cmp_class_f32_e32 vcc, v5, v6
	v_mul_f32_e32 v1, v9, v1
	v_cndmask_b32_e32 v3, v3, v5, vcc
	v_div_scale_f32 v5, s[0:1], v3, v3, v1
	v_div_scale_f32 v6, vcc, v1, v3, v1
	v_rcp_f32_e32 v8, v5
	v_fma_f32 v9, -v5, v8, 1.0
	v_fmac_f32_e32 v8, v9, v8
	v_mul_f32_e32 v9, v6, v8
	v_fma_f32 v10, -v5, v9, v6
	v_fmac_f32_e32 v9, v10, v8
	v_fma_f32 v5, -v5, v9, v6
	v_div_fmas_f32 v5, v5, v8, v9
	v_div_fixup_f32 v6, v5, v3, v1
.LBB17_1572:
	s_or_b64 exec, exec, s[10:11]
	v_mul_lo_u32 v3, s2, v7
	v_mov_b32_e32 v1, s9
	s_and_b32 s20, s33, 0xff
	s_cmp_lt_i32 s20, 11
	v_ashrrev_i32_e32 v5, 31, v3
	v_add_co_u32_e32 v7, vcc, s8, v3
	v_addc_co_u32_e32 v8, vcc, v1, v5, vcc
	s_cbranch_scc1 .LBB17_1696
; %bb.1573:
	s_and_b32 s3, 0xffff, s20
	s_mov_b64 s[16:17], -1
	s_mov_b64 s[10:11], 0
	s_cmp_gt_i32 s3, 25
	s_mov_b64 s[12:13], 0
	s_mov_b64 s[0:1], 0
	s_cbranch_scc0 .LBB17_1606
; %bb.1574:
	s_cmp_gt_i32 s3, 28
	s_cbranch_scc0 .LBB17_1589
; %bb.1575:
	s_cmp_gt_i32 s3, 43
	s_cbranch_scc0 .LBB17_1585
; %bb.1576:
	s_cmp_gt_i32 s3, 45
	s_cbranch_scc0 .LBB17_1579
; %bb.1577:
	s_mov_b64 s[0:1], -1
	s_mov_b64 s[16:17], 0
	s_cmp_eq_u32 s3, 46
	s_cbranch_scc0 .LBB17_1579
; %bb.1578:
	v_bfe_u32 v1, v0, 16, 1
	s_movk_i32 s0, 0x7fff
	v_add3_u32 v1, v0, v1, s0
	v_cmp_o_f32_e32 vcc, v0, v0
	v_mov_b32_e32 v5, 0x7fc0
	v_cndmask_b32_sdwa v1, v5, v1, vcc dst_sel:DWORD dst_unused:UNUSED_PAD src0_sel:DWORD src1_sel:WORD_1
	global_store_dword v[7:8], v1, off
	s_mov_b64 s[0:1], 0
	s_mov_b64 s[12:13], -1
.LBB17_1579:
	s_and_b64 vcc, exec, s[16:17]
	s_cbranch_vccz .LBB17_1584
; %bb.1580:
	s_cmp_eq_u32 s3, 44
	s_mov_b64 s[0:1], -1
	s_cbranch_scc0 .LBB17_1584
; %bb.1581:
	v_bfe_u32 v1, v0, 23, 8
	s_movk_i32 s0, 0xff
	v_cmp_ne_u32_e32 vcc, s0, v1
	v_mov_b32_e32 v5, 0xff
	s_and_saveexec_b64 s[12:13], vcc
; %bb.1582:
	s_mov_b32 s0, 0x3fffff
	v_and_b32_e32 v9, 0x400000, v0
	v_and_or_b32 v1, v0, s0, v1
	v_cmp_ne_u32_e32 vcc, 0, v9
	v_cmp_ne_u32_e64 s[0:1], 0, v1
	s_and_b64 s[0:1], vcc, s[0:1]
	v_lshrrev_b32_e32 v5, 23, v0
	v_cndmask_b32_e64 v1, 0, 1, s[0:1]
	v_add_u32_e32 v5, v5, v1
; %bb.1583:
	s_or_b64 exec, exec, s[12:13]
	s_mov_b64 s[0:1], 0
	s_mov_b64 s[12:13], -1
	global_store_byte v[7:8], v5, off
.LBB17_1584:
	s_mov_b64 s[16:17], 0
.LBB17_1585:
	s_and_b64 vcc, exec, s[16:17]
	s_cbranch_vccz .LBB17_1588
; %bb.1586:
	s_cmp_eq_u32 s3, 29
	s_mov_b64 s[0:1], -1
	s_cbranch_scc0 .LBB17_1588
; %bb.1587:
	v_trunc_f32_e32 v1, v0
	v_mul_f32_e32 v5, 0x2f800000, v1
	v_floor_f32_e32 v5, v5
	v_fmac_f32_e32 v1, 0xcf800000, v5
	v_cvt_u32_f32_e32 v10, v5
	v_cvt_u32_f32_e32 v9, v1
	s_mov_b64 s[0:1], 0
	s_mov_b64 s[12:13], -1
	global_store_dwordx2 v[7:8], v[9:10], off
.LBB17_1588:
	s_mov_b64 s[16:17], 0
.LBB17_1589:
	s_and_b64 vcc, exec, s[16:17]
	s_cbranch_vccz .LBB17_1605
; %bb.1590:
	s_cmp_lt_i32 s3, 27
	s_mov_b64 s[12:13], -1
	s_cbranch_scc1 .LBB17_1596
; %bb.1591:
	v_cvt_u32_f32_e32 v1, v0
	s_cmp_gt_i32 s3, 27
	s_cbranch_scc0 .LBB17_1593
; %bb.1592:
	s_mov_b64 s[12:13], 0
	global_store_dword v[7:8], v1, off
.LBB17_1593:
	s_andn2_b64 vcc, exec, s[12:13]
	s_cbranch_vccnz .LBB17_1595
; %bb.1594:
	global_store_short v[7:8], v1, off
.LBB17_1595:
	s_mov_b64 s[12:13], 0
.LBB17_1596:
	s_andn2_b64 vcc, exec, s[12:13]
	s_cbranch_vccnz .LBB17_1604
; %bb.1597:
	v_and_b32_e32 v1, 0x7fffffff, v0
	s_mov_b32 s12, 0x43800000
	v_cmp_gt_u32_e32 vcc, s12, v1
	v_mov_b32_e32 v5, 0x80
	s_and_saveexec_b64 s[12:13], vcc
	s_cbranch_execz .LBB17_1603
; %bb.1598:
	s_mov_b32 s16, 0x3bffffff
	v_cmp_lt_u32_e32 vcc, s16, v1
	s_mov_b64 s[16:17], 0
                                        ; implicit-def: $vgpr1
	s_and_saveexec_b64 s[18:19], vcc
	s_xor_b64 s[18:19], exec, s[18:19]
	s_cbranch_execz .LBB17_2054
; %bb.1599:
	v_bfe_u32 v1, v0, 20, 1
	s_mov_b32 s21, 0x487ffff
	v_add3_u32 v1, v0, v1, s21
	s_mov_b64 s[16:17], exec
	v_lshrrev_b32_e32 v1, 20, v1
	s_andn2_saveexec_b64 s[18:19], s[18:19]
	s_cbranch_execnz .LBB17_2055
.LBB17_1600:
	s_or_b64 exec, exec, s[18:19]
	v_mov_b32_e32 v5, 0
	s_and_saveexec_b64 s[18:19], s[16:17]
.LBB17_1601:
	v_lshrrev_b32_e32 v5, 24, v0
	s_movk_i32 s16, 0x80
	v_and_or_b32 v5, v5, s16, v1
.LBB17_1602:
	s_or_b64 exec, exec, s[18:19]
.LBB17_1603:
	s_or_b64 exec, exec, s[12:13]
	global_store_byte v[7:8], v5, off
.LBB17_1604:
	s_mov_b64 s[12:13], -1
.LBB17_1605:
	s_mov_b64 s[16:17], 0
.LBB17_1606:
	s_and_b64 vcc, exec, s[16:17]
	s_cbranch_vccz .LBB17_1646
; %bb.1607:
	s_cmp_gt_i32 s3, 22
	s_mov_b64 s[10:11], -1
	s_cbranch_scc0 .LBB17_1639
; %bb.1608:
	s_cmp_lt_i32 s3, 24
	s_cbranch_scc1 .LBB17_1628
; %bb.1609:
	s_cmp_gt_i32 s3, 24
	s_cbranch_scc0 .LBB17_1617
; %bb.1610:
	v_and_b32_e32 v1, 0x7fffffff, v0
	s_mov_b32 s10, 0x47800000
	v_cmp_gt_u32_e32 vcc, s10, v1
	v_mov_b32_e32 v5, 0x80
	s_and_saveexec_b64 s[10:11], vcc
	s_cbranch_execz .LBB17_1616
; %bb.1611:
	s_mov_b32 s12, 0x37ffffff
	v_cmp_lt_u32_e32 vcc, s12, v1
	s_mov_b64 s[12:13], 0
                                        ; implicit-def: $vgpr1
	s_and_saveexec_b64 s[16:17], vcc
	s_xor_b64 s[16:17], exec, s[16:17]
	s_cbranch_execz .LBB17_2057
; %bb.1612:
	v_bfe_u32 v1, v0, 21, 1
	s_mov_b32 s18, 0x88fffff
	v_add3_u32 v1, v0, v1, s18
	s_mov_b64 s[12:13], exec
	v_lshrrev_b32_e32 v1, 21, v1
	s_andn2_saveexec_b64 s[16:17], s[16:17]
	s_cbranch_execnz .LBB17_2058
.LBB17_1613:
	s_or_b64 exec, exec, s[16:17]
	v_mov_b32_e32 v5, 0
	s_and_saveexec_b64 s[16:17], s[12:13]
.LBB17_1614:
	v_lshrrev_b32_e32 v5, 24, v0
	s_movk_i32 s12, 0x80
	v_and_or_b32 v5, v5, s12, v1
.LBB17_1615:
	s_or_b64 exec, exec, s[16:17]
.LBB17_1616:
	s_or_b64 exec, exec, s[10:11]
	s_mov_b64 s[10:11], 0
	global_store_byte v[7:8], v5, off
.LBB17_1617:
	s_and_b64 vcc, exec, s[10:11]
	s_cbranch_vccz .LBB17_1627
; %bb.1618:
	v_and_b32_e32 v5, 0x7fffffff, v0
	s_mov_b32 s10, 0x43f00000
	v_cmp_gt_u32_e32 vcc, s10, v5
                                        ; implicit-def: $vgpr1
	s_and_saveexec_b64 s[10:11], vcc
	s_xor_b64 s[10:11], exec, s[10:11]
	s_cbranch_execz .LBB17_1624
; %bb.1619:
	s_mov_b32 s12, 0x3c7fffff
	v_cmp_lt_u32_e32 vcc, s12, v5
                                        ; implicit-def: $vgpr1
	s_and_saveexec_b64 s[12:13], vcc
	s_xor_b64 s[12:13], exec, s[12:13]
; %bb.1620:
	v_bfe_u32 v1, v0, 20, 1
	s_mov_b32 s16, 0x407ffff
	v_add3_u32 v1, v0, v1, s16
	v_lshrrev_b32_e32 v5, 20, v1
	v_and_b32_e32 v1, 0xff00000, v1
	s_mov_b32 s16, 0x7f00000
	v_mov_b32_e32 v9, 0x7e
	v_cmp_ne_u32_e32 vcc, s16, v1
	v_cndmask_b32_e32 v1, v9, v5, vcc
; %bb.1621:
	s_andn2_saveexec_b64 s[12:13], s[12:13]
; %bb.1622:
	s_mov_b32 s16, 0x46800000
	v_add_f32_e64 v1, |v0|, s16
; %bb.1623:
	s_or_b64 exec, exec, s[12:13]
                                        ; implicit-def: $vgpr5
.LBB17_1624:
	s_andn2_saveexec_b64 s[10:11], s[10:11]
; %bb.1625:
	s_mov_b32 s12, 0x7f800000
	v_mov_b32_e32 v1, 0x7e
	v_mov_b32_e32 v9, 0x7f
	v_cmp_lt_u32_e32 vcc, s12, v5
	v_cndmask_b32_e32 v1, v1, v9, vcc
; %bb.1626:
	s_or_b64 exec, exec, s[10:11]
	v_lshrrev_b32_e32 v5, 24, v0
	s_movk_i32 s10, 0x80
	v_and_or_b32 v1, v5, s10, v1
	global_store_byte v[7:8], v1, off
.LBB17_1627:
	s_mov_b64 s[10:11], 0
.LBB17_1628:
	s_andn2_b64 vcc, exec, s[10:11]
	s_cbranch_vccnz .LBB17_1638
; %bb.1629:
	v_and_b32_e32 v5, 0x7fffffff, v0
	s_mov_b32 s10, 0x47800000
	v_cmp_gt_u32_e32 vcc, s10, v5
                                        ; implicit-def: $vgpr1
	s_and_saveexec_b64 s[10:11], vcc
	s_xor_b64 s[10:11], exec, s[10:11]
	s_cbranch_execz .LBB17_1635
; %bb.1630:
	s_mov_b32 s12, 0x387fffff
	v_cmp_lt_u32_e32 vcc, s12, v5
                                        ; implicit-def: $vgpr1
	s_and_saveexec_b64 s[12:13], vcc
	s_xor_b64 s[12:13], exec, s[12:13]
; %bb.1631:
	v_bfe_u32 v1, v0, 21, 1
	s_mov_b32 s16, 0x80fffff
	v_add3_u32 v1, v0, v1, s16
	v_lshrrev_b32_e32 v1, 21, v1
; %bb.1632:
	s_andn2_saveexec_b64 s[12:13], s[12:13]
; %bb.1633:
	s_mov_b32 s16, 0x43000000
	v_add_f32_e64 v1, |v0|, s16
; %bb.1634:
	s_or_b64 exec, exec, s[12:13]
                                        ; implicit-def: $vgpr5
.LBB17_1635:
	s_andn2_saveexec_b64 s[10:11], s[10:11]
; %bb.1636:
	s_mov_b32 s12, 0x7f800000
	v_mov_b32_e32 v1, 0x7c
	v_mov_b32_e32 v9, 0x7f
	v_cmp_lt_u32_e32 vcc, s12, v5
	v_cndmask_b32_e32 v1, v1, v9, vcc
; %bb.1637:
	s_or_b64 exec, exec, s[10:11]
	v_lshrrev_b32_e32 v5, 24, v0
	s_movk_i32 s10, 0x80
	v_and_or_b32 v1, v5, s10, v1
	global_store_byte v[7:8], v1, off
.LBB17_1638:
	s_mov_b64 s[10:11], 0
	s_mov_b64 s[12:13], -1
.LBB17_1639:
	s_andn2_b64 vcc, exec, s[10:11]
	s_mov_b64 s[10:11], 0
	s_cbranch_vccnz .LBB17_1646
; %bb.1640:
	s_cmp_gt_i32 s3, 14
	s_mov_b64 s[16:17], -1
	s_cbranch_scc0 .LBB17_1644
; %bb.1641:
	s_cmp_eq_u32 s3, 15
	s_mov_b64 s[0:1], -1
	s_cbranch_scc0 .LBB17_1643
; %bb.1642:
	v_bfe_u32 v1, v0, 16, 1
	s_movk_i32 s0, 0x7fff
	v_add3_u32 v1, v0, v1, s0
	v_cmp_o_f32_e32 vcc, v0, v0
	v_mov_b32_e32 v5, 0x7fc0
	v_cndmask_b32_sdwa v1, v5, v1, vcc dst_sel:DWORD dst_unused:UNUSED_PAD src0_sel:DWORD src1_sel:WORD_1
	global_store_short v[7:8], v1, off
	s_mov_b64 s[0:1], 0
	s_mov_b64 s[12:13], -1
.LBB17_1643:
	s_mov_b64 s[16:17], 0
.LBB17_1644:
	s_and_b64 vcc, exec, s[16:17]
	s_cbranch_vccz .LBB17_1646
; %bb.1645:
	s_cmp_lg_u32 s3, 11
	s_mov_b64 s[10:11], -1
	s_cselect_b64 s[0:1], -1, 0
.LBB17_1646:
	s_and_b64 vcc, exec, s[0:1]
	s_cbranch_vccnz .LBB17_2056
; %bb.1647:
	s_andn2_b64 vcc, exec, s[10:11]
	s_cbranch_vccnz .LBB17_1649
.LBB17_1648:
	v_cmp_neq_f32_e32 vcc, 0, v0
	v_cndmask_b32_e64 v1, 0, 1, vcc
	s_mov_b64 s[12:13], -1
	global_store_byte v[7:8], v1, off
.LBB17_1649:
	s_mov_b64 s[0:1], 0
	s_branch .LBB17_1697
.LBB17_1650:
	s_mov_b64 s[0:1], 0
                                        ; implicit-def: $sgpr20
                                        ; implicit-def: $vgpr0_vgpr1
                                        ; implicit-def: $vgpr6
.LBB17_1651:
	s_mov_b64 s[2:3], 0
.LBB17_1652:
	s_and_b64 s[12:13], s[2:3], exec
	s_andn2_b64 s[2:3], s[6:7], exec
	s_and_b64 s[6:7], s[14:15], exec
	s_and_b64 s[0:1], s[0:1], exec
	s_or_b64 s[6:7], s[2:3], s[6:7]
.LBB17_1653:
	s_or_b64 exec, exec, s[4:5]
	s_and_saveexec_b64 s[2:3], s[6:7]
	s_cbranch_execz .LBB17_1656
; %bb.1654:
	; divergent unreachable
	s_or_b64 exec, exec, s[2:3]
	s_and_saveexec_b64 s[2:3], s[12:13]
	s_xor_b64 s[2:3], exec, s[2:3]
	s_cbranch_execnz .LBB17_1657
.LBB17_1655:
	s_or_b64 exec, exec, s[2:3]
	s_and_saveexec_b64 s[2:3], s[0:1]
	s_cbranch_execnz .LBB17_1658
	s_branch .LBB17_1695
.LBB17_1656:
	s_or_b64 exec, exec, s[2:3]
	s_and_saveexec_b64 s[2:3], s[12:13]
	s_xor_b64 s[2:3], exec, s[2:3]
	s_cbranch_execz .LBB17_1655
.LBB17_1657:
	v_cmp_neq_f32_e32 vcc, 0, v6
	s_waitcnt vmcnt(0)
	v_cndmask_b32_e64 v2, 0, 1, vcc
	global_store_byte v[0:1], v2, off
	s_or_b64 exec, exec, s[2:3]
	s_and_saveexec_b64 s[2:3], s[0:1]
	s_cbranch_execz .LBB17_1695
.LBB17_1658:
	s_sext_i32_i16 s2, s20
	s_cmp_lt_i32 s2, 5
	s_mov_b64 s[0:1], -1
	s_cbranch_scc1 .LBB17_1679
; %bb.1659:
	s_cmp_lt_i32 s2, 8
	s_cbranch_scc1 .LBB17_1669
; %bb.1660:
	s_cmp_lt_i32 s2, 9
	s_cbranch_scc1 .LBB17_1666
; %bb.1661:
	s_cmp_gt_i32 s2, 9
	s_cbranch_scc0 .LBB17_1663
; %bb.1662:
	s_waitcnt vmcnt(0)
	v_cvt_f64_f32_e32 v[2:3], v6
	v_mov_b32_e32 v4, 0
	v_mov_b32_e32 v5, v4
	s_mov_b64 s[0:1], 0
	global_store_dwordx4 v[0:1], v[2:5], off
.LBB17_1663:
	s_andn2_b64 vcc, exec, s[0:1]
	s_cbranch_vccnz .LBB17_1665
; %bb.1664:
	v_mov_b32_e32 v7, 0
	s_waitcnt vmcnt(0)
	global_store_dwordx2 v[0:1], v[6:7], off
.LBB17_1665:
	s_mov_b64 s[0:1], 0
.LBB17_1666:
	s_andn2_b64 vcc, exec, s[0:1]
	s_cbranch_vccnz .LBB17_1668
; %bb.1667:
	s_waitcnt vmcnt(0)
	v_cvt_f16_f32_e32 v2, v6
	global_store_dword v[0:1], v2, off
.LBB17_1668:
	s_mov_b64 s[0:1], 0
.LBB17_1669:
	s_andn2_b64 vcc, exec, s[0:1]
	s_cbranch_vccnz .LBB17_1678
; %bb.1670:
	s_sext_i32_i16 s2, s20
	s_cmp_lt_i32 s2, 6
	s_mov_b64 s[0:1], -1
	s_cbranch_scc1 .LBB17_1676
; %bb.1671:
	s_cmp_gt_i32 s2, 6
	s_cbranch_scc0 .LBB17_1673
; %bb.1672:
	s_waitcnt vmcnt(0)
	v_cvt_f64_f32_e32 v[2:3], v6
	s_mov_b64 s[0:1], 0
	global_store_dwordx2 v[0:1], v[2:3], off
.LBB17_1673:
	s_andn2_b64 vcc, exec, s[0:1]
	s_cbranch_vccnz .LBB17_1675
; %bb.1674:
	s_waitcnt vmcnt(0)
	global_store_dword v[0:1], v6, off
.LBB17_1675:
	s_mov_b64 s[0:1], 0
.LBB17_1676:
	s_andn2_b64 vcc, exec, s[0:1]
	s_cbranch_vccnz .LBB17_1678
; %bb.1677:
	s_waitcnt vmcnt(0)
	v_cvt_f16_f32_e32 v2, v6
	global_store_short v[0:1], v2, off
.LBB17_1678:
	s_mov_b64 s[0:1], 0
.LBB17_1679:
	s_andn2_b64 vcc, exec, s[0:1]
	s_cbranch_vccnz .LBB17_1695
; %bb.1680:
	s_sext_i32_i16 s2, s20
	s_cmp_lt_i32 s2, 2
	s_mov_b64 s[0:1], -1
	s_cbranch_scc1 .LBB17_1690
; %bb.1681:
	s_cmp_lt_i32 s2, 3
	s_cbranch_scc1 .LBB17_1687
; %bb.1682:
	s_cmp_gt_i32 s2, 3
	s_cbranch_scc0 .LBB17_1684
; %bb.1683:
	s_waitcnt vmcnt(0)
	v_trunc_f32_e32 v2, v6
	s_mov_b32 s0, 0x2f800000
	v_mul_f32_e64 v3, |v2|, s0
	v_floor_f32_e32 v3, v3
	s_mov_b32 s0, 0xcf800000
	v_cvt_u32_f32_e32 v4, v3
	v_fma_f32 v3, v3, s0, |v2|
	v_cvt_u32_f32_e32 v3, v3
	v_ashrrev_i32_e32 v5, 31, v2
	v_xor_b32_e32 v4, v4, v5
	s_mov_b64 s[0:1], 0
	v_xor_b32_e32 v2, v3, v5
	v_sub_co_u32_e32 v2, vcc, v2, v5
	v_subb_co_u32_e32 v3, vcc, v4, v5, vcc
	global_store_dwordx2 v[0:1], v[2:3], off
.LBB17_1684:
	s_andn2_b64 vcc, exec, s[0:1]
	s_cbranch_vccnz .LBB17_1686
; %bb.1685:
	s_waitcnt vmcnt(0)
	v_cvt_i32_f32_e32 v2, v6
	global_store_dword v[0:1], v2, off
.LBB17_1686:
	s_mov_b64 s[0:1], 0
.LBB17_1687:
	s_andn2_b64 vcc, exec, s[0:1]
	s_cbranch_vccnz .LBB17_1689
; %bb.1688:
	s_waitcnt vmcnt(0)
	v_cvt_i32_f32_e32 v2, v6
	global_store_short v[0:1], v2, off
.LBB17_1689:
	s_mov_b64 s[0:1], 0
.LBB17_1690:
	s_andn2_b64 vcc, exec, s[0:1]
	s_cbranch_vccnz .LBB17_1695
; %bb.1691:
	s_sext_i32_i16 s0, s20
	s_cmp_gt_i32 s0, 0
	s_mov_b64 s[0:1], -1
	s_cbranch_scc0 .LBB17_1693
; %bb.1692:
	s_waitcnt vmcnt(0)
	v_cvt_i32_f32_e32 v2, v6
	s_mov_b64 s[0:1], 0
	global_store_byte v[0:1], v2, off
.LBB17_1693:
	s_andn2_b64 vcc, exec, s[0:1]
	s_cbranch_vccnz .LBB17_1695
; %bb.1694:
	s_waitcnt vmcnt(0)
	v_trunc_f32_e32 v2, v6
	s_mov_b32 s0, 0x2f800000
	v_mul_f32_e64 v3, |v2|, s0
	v_floor_f32_e32 v3, v3
	s_mov_b32 s0, 0xcf800000
	v_fma_f32 v3, v3, s0, |v2|
	v_cvt_u32_f32_e32 v3, v3
	v_ashrrev_i32_e32 v2, 31, v2
	v_xor_b32_e32 v3, v3, v2
	v_sub_u32_e32 v2, v3, v2
	global_store_byte v[0:1], v2, off
	s_endpgm
.LBB17_1695:
	s_endpgm
.LBB17_1696:
	s_mov_b64 s[0:1], -1
	s_mov_b64 s[12:13], 0
.LBB17_1697:
	s_and_b64 vcc, exec, s[0:1]
	s_cbranch_vccz .LBB17_1736
; %bb.1698:
	s_and_b32 s3, 0xffff, s20
	s_cmp_lt_i32 s3, 5
	s_mov_b64 s[0:1], -1
	s_cbranch_scc1 .LBB17_1719
; %bb.1699:
	s_cmp_lt_i32 s3, 8
	s_cbranch_scc1 .LBB17_1709
; %bb.1700:
	s_cmp_lt_i32 s3, 9
	s_cbranch_scc1 .LBB17_1706
; %bb.1701:
	s_cmp_gt_i32 s3, 9
	s_cbranch_scc0 .LBB17_1703
; %bb.1702:
	v_cvt_f64_f32_e32 v[9:10], v0
	v_mov_b32_e32 v11, 0
	v_mov_b32_e32 v12, v11
	s_mov_b64 s[0:1], 0
	global_store_dwordx4 v[7:8], v[9:12], off
.LBB17_1703:
	s_andn2_b64 vcc, exec, s[0:1]
	s_cbranch_vccnz .LBB17_1705
; %bb.1704:
	v_mov_b32_e32 v1, 0
	global_store_dwordx2 v[7:8], v[0:1], off
.LBB17_1705:
	s_mov_b64 s[0:1], 0
.LBB17_1706:
	s_andn2_b64 vcc, exec, s[0:1]
	s_cbranch_vccnz .LBB17_1708
; %bb.1707:
	v_cvt_f16_f32_e32 v1, v0
	global_store_dword v[7:8], v1, off
.LBB17_1708:
	s_mov_b64 s[0:1], 0
.LBB17_1709:
	s_andn2_b64 vcc, exec, s[0:1]
	s_cbranch_vccnz .LBB17_1718
; %bb.1710:
	s_cmp_lt_i32 s3, 6
	s_mov_b64 s[0:1], -1
	s_cbranch_scc1 .LBB17_1716
; %bb.1711:
	s_cmp_gt_i32 s3, 6
	s_cbranch_scc0 .LBB17_1713
; %bb.1712:
	v_cvt_f64_f32_e32 v[9:10], v0
	s_mov_b64 s[0:1], 0
	global_store_dwordx2 v[7:8], v[9:10], off
.LBB17_1713:
	s_andn2_b64 vcc, exec, s[0:1]
	s_cbranch_vccnz .LBB17_1715
; %bb.1714:
	global_store_dword v[7:8], v0, off
.LBB17_1715:
	s_mov_b64 s[0:1], 0
.LBB17_1716:
	s_andn2_b64 vcc, exec, s[0:1]
	s_cbranch_vccnz .LBB17_1718
; %bb.1717:
	v_cvt_f16_f32_e32 v1, v0
	global_store_short v[7:8], v1, off
.LBB17_1718:
	s_mov_b64 s[0:1], 0
.LBB17_1719:
	s_andn2_b64 vcc, exec, s[0:1]
	s_cbranch_vccnz .LBB17_1735
; %bb.1720:
	s_cmp_lt_i32 s3, 2
	s_mov_b64 s[0:1], -1
	s_cbranch_scc1 .LBB17_1730
; %bb.1721:
	s_cmp_lt_i32 s3, 3
	s_cbranch_scc1 .LBB17_1727
; %bb.1722:
	s_cmp_gt_i32 s3, 3
	s_cbranch_scc0 .LBB17_1724
; %bb.1723:
	v_trunc_f32_e32 v1, v0
	s_mov_b32 s0, 0x2f800000
	v_mul_f32_e64 v5, |v1|, s0
	v_floor_f32_e32 v5, v5
	s_mov_b32 s0, 0xcf800000
	v_cvt_u32_f32_e32 v9, v5
	v_fma_f32 v5, v5, s0, |v1|
	v_cvt_u32_f32_e32 v5, v5
	v_ashrrev_i32_e32 v1, 31, v1
	v_xor_b32_e32 v10, v9, v1
	s_mov_b64 s[0:1], 0
	v_xor_b32_e32 v5, v5, v1
	v_sub_co_u32_e32 v9, vcc, v5, v1
	v_subb_co_u32_e32 v10, vcc, v10, v1, vcc
	global_store_dwordx2 v[7:8], v[9:10], off
.LBB17_1724:
	s_andn2_b64 vcc, exec, s[0:1]
	s_cbranch_vccnz .LBB17_1726
; %bb.1725:
	v_cvt_i32_f32_e32 v1, v0
	global_store_dword v[7:8], v1, off
.LBB17_1726:
	s_mov_b64 s[0:1], 0
.LBB17_1727:
	s_andn2_b64 vcc, exec, s[0:1]
	s_cbranch_vccnz .LBB17_1729
; %bb.1728:
	v_cvt_i32_f32_e32 v1, v0
	global_store_short v[7:8], v1, off
.LBB17_1729:
	s_mov_b64 s[0:1], 0
.LBB17_1730:
	s_andn2_b64 vcc, exec, s[0:1]
	s_cbranch_vccnz .LBB17_1735
; %bb.1731:
	s_cmp_gt_i32 s3, 0
	s_mov_b64 s[0:1], -1
	s_cbranch_scc0 .LBB17_1733
; %bb.1732:
	v_cvt_i32_f32_e32 v1, v0
	s_mov_b64 s[0:1], 0
	global_store_byte v[7:8], v1, off
.LBB17_1733:
	s_andn2_b64 vcc, exec, s[0:1]
	s_cbranch_vccnz .LBB17_1735
; %bb.1734:
	v_trunc_f32_e32 v0, v0
	s_mov_b32 s0, 0x2f800000
	v_mul_f32_e64 v1, |v0|, s0
	v_floor_f32_e32 v1, v1
	s_mov_b32 s0, 0xcf800000
	v_fma_f32 v1, v1, s0, |v0|
	v_cvt_u32_f32_e32 v1, v1
	v_ashrrev_i32_e32 v0, 31, v0
	v_xor_b32_e32 v1, v1, v0
	v_sub_u32_e32 v0, v1, v0
	global_store_byte v[7:8], v0, off
.LBB17_1735:
	s_mov_b64 s[12:13], -1
.LBB17_1736:
	s_andn2_b64 vcc, exec, s[12:13]
	s_cbranch_vccnz .LBB17_2051
; %bb.1737:
	s_lshl_b32 s18, s2, 7
	v_add_u32_e32 v5, s18, v3
	v_ashrrev_i32_e32 v1, 31, v5
	v_mov_b32_e32 v3, s9
	v_add_co_u32_e32 v0, vcc, s8, v5
	s_cmp_lt_i32 s20, 11
	v_addc_co_u32_e32 v1, vcc, v3, v1, vcc
	s_cbranch_scc1 .LBB17_1815
; %bb.1738:
	s_and_b32 s19, 0xffff, s20
	s_mov_b64 s[12:13], -1
	s_mov_b64 s[2:3], 0
	s_cmp_gt_i32 s19, 25
	s_mov_b64 s[10:11], 0
	s_mov_b64 s[0:1], 0
	s_cbranch_scc0 .LBB17_1771
; %bb.1739:
	s_cmp_gt_i32 s19, 28
	s_cbranch_scc0 .LBB17_1754
; %bb.1740:
	s_cmp_gt_i32 s19, 43
	;; [unrolled: 3-line block ×3, first 2 shown]
	s_cbranch_scc0 .LBB17_1744
; %bb.1742:
	s_mov_b64 s[0:1], -1
	s_mov_b64 s[12:13], 0
	s_cmp_eq_u32 s19, 46
	s_cbranch_scc0 .LBB17_1744
; %bb.1743:
	v_bfe_u32 v3, v2, 16, 1
	s_movk_i32 s0, 0x7fff
	v_add3_u32 v3, v2, v3, s0
	v_cmp_o_f32_e32 vcc, v2, v2
	v_mov_b32_e32 v7, 0x7fc0
	v_cndmask_b32_sdwa v3, v7, v3, vcc dst_sel:DWORD dst_unused:UNUSED_PAD src0_sel:DWORD src1_sel:WORD_1
	global_store_dword v[0:1], v3, off
	s_mov_b64 s[0:1], 0
	s_mov_b64 s[10:11], -1
.LBB17_1744:
	s_and_b64 vcc, exec, s[12:13]
	s_cbranch_vccz .LBB17_1749
; %bb.1745:
	s_cmp_eq_u32 s19, 44
	s_mov_b64 s[0:1], -1
	s_cbranch_scc0 .LBB17_1749
; %bb.1746:
	v_bfe_u32 v3, v2, 23, 8
	s_movk_i32 s0, 0xff
	v_cmp_ne_u32_e32 vcc, s0, v3
	v_mov_b32_e32 v7, 0xff
	s_and_saveexec_b64 s[10:11], vcc
; %bb.1747:
	s_mov_b32 s0, 0x3fffff
	v_and_b32_e32 v8, 0x400000, v2
	v_and_or_b32 v3, v2, s0, v3
	v_cmp_ne_u32_e32 vcc, 0, v8
	v_cmp_ne_u32_e64 s[0:1], 0, v3
	s_and_b64 s[0:1], vcc, s[0:1]
	v_lshrrev_b32_e32 v7, 23, v2
	v_cndmask_b32_e64 v3, 0, 1, s[0:1]
	v_add_u32_e32 v7, v7, v3
; %bb.1748:
	s_or_b64 exec, exec, s[10:11]
	s_mov_b64 s[0:1], 0
	s_mov_b64 s[10:11], -1
	global_store_byte v[0:1], v7, off
.LBB17_1749:
	s_mov_b64 s[12:13], 0
.LBB17_1750:
	s_and_b64 vcc, exec, s[12:13]
	s_cbranch_vccz .LBB17_1753
; %bb.1751:
	s_cmp_eq_u32 s19, 29
	s_mov_b64 s[0:1], -1
	s_cbranch_scc0 .LBB17_1753
; %bb.1752:
	v_trunc_f32_e32 v3, v2
	v_mul_f32_e32 v7, 0x2f800000, v3
	v_floor_f32_e32 v7, v7
	v_fmac_f32_e32 v3, 0xcf800000, v7
	v_cvt_u32_f32_e32 v8, v7
	v_cvt_u32_f32_e32 v7, v3
	s_mov_b64 s[0:1], 0
	s_mov_b64 s[10:11], -1
	global_store_dwordx2 v[0:1], v[7:8], off
.LBB17_1753:
	s_mov_b64 s[12:13], 0
.LBB17_1754:
	s_and_b64 vcc, exec, s[12:13]
	s_cbranch_vccz .LBB17_1770
; %bb.1755:
	s_cmp_lt_i32 s19, 27
	s_mov_b64 s[10:11], -1
	s_cbranch_scc1 .LBB17_1761
; %bb.1756:
	v_cvt_u32_f32_e32 v3, v2
	s_cmp_gt_i32 s19, 27
	s_cbranch_scc0 .LBB17_1758
; %bb.1757:
	s_mov_b64 s[10:11], 0
	global_store_dword v[0:1], v3, off
.LBB17_1758:
	s_andn2_b64 vcc, exec, s[10:11]
	s_cbranch_vccnz .LBB17_1760
; %bb.1759:
	global_store_short v[0:1], v3, off
.LBB17_1760:
	s_mov_b64 s[10:11], 0
.LBB17_1761:
	s_andn2_b64 vcc, exec, s[10:11]
	s_cbranch_vccnz .LBB17_1769
; %bb.1762:
	v_and_b32_e32 v3, 0x7fffffff, v2
	s_mov_b32 s10, 0x43800000
	v_cmp_gt_u32_e32 vcc, s10, v3
	v_mov_b32_e32 v7, 0x80
	s_and_saveexec_b64 s[10:11], vcc
	s_cbranch_execz .LBB17_1768
; %bb.1763:
	s_mov_b32 s12, 0x3bffffff
	v_cmp_lt_u32_e32 vcc, s12, v3
	s_mov_b64 s[12:13], 0
                                        ; implicit-def: $vgpr3
	s_and_saveexec_b64 s[16:17], vcc
	s_xor_b64 s[16:17], exec, s[16:17]
	s_cbranch_execz .LBB17_2059
; %bb.1764:
	v_bfe_u32 v3, v2, 20, 1
	s_mov_b32 s21, 0x487ffff
	v_add3_u32 v3, v2, v3, s21
	s_mov_b64 s[12:13], exec
	v_lshrrev_b32_e32 v3, 20, v3
	s_andn2_saveexec_b64 s[16:17], s[16:17]
	s_cbranch_execnz .LBB17_2060
.LBB17_1765:
	s_or_b64 exec, exec, s[16:17]
	v_mov_b32_e32 v7, 0
	s_and_saveexec_b64 s[16:17], s[12:13]
.LBB17_1766:
	v_lshrrev_b32_e32 v7, 24, v2
	s_movk_i32 s12, 0x80
	v_and_or_b32 v7, v7, s12, v3
.LBB17_1767:
	s_or_b64 exec, exec, s[16:17]
.LBB17_1768:
	s_or_b64 exec, exec, s[10:11]
	global_store_byte v[0:1], v7, off
.LBB17_1769:
	s_mov_b64 s[10:11], -1
.LBB17_1770:
	s_mov_b64 s[12:13], 0
.LBB17_1771:
	s_and_b64 vcc, exec, s[12:13]
	s_cbranch_vccz .LBB17_1811
; %bb.1772:
	s_cmp_gt_i32 s19, 22
	s_mov_b64 s[2:3], -1
	s_cbranch_scc0 .LBB17_1804
; %bb.1773:
	s_cmp_lt_i32 s19, 24
	s_cbranch_scc1 .LBB17_1793
; %bb.1774:
	s_cmp_gt_i32 s19, 24
	s_cbranch_scc0 .LBB17_1782
; %bb.1775:
	v_and_b32_e32 v3, 0x7fffffff, v2
	s_mov_b32 s2, 0x47800000
	v_cmp_gt_u32_e32 vcc, s2, v3
	v_mov_b32_e32 v7, 0x80
	s_and_saveexec_b64 s[2:3], vcc
	s_cbranch_execz .LBB17_1781
; %bb.1776:
	s_mov_b32 s10, 0x37ffffff
	v_cmp_lt_u32_e32 vcc, s10, v3
	s_mov_b64 s[10:11], 0
                                        ; implicit-def: $vgpr3
	s_and_saveexec_b64 s[12:13], vcc
	s_xor_b64 s[12:13], exec, s[12:13]
	s_cbranch_execz .LBB17_2062
; %bb.1777:
	v_bfe_u32 v3, v2, 21, 1
	s_mov_b32 s16, 0x88fffff
	v_add3_u32 v3, v2, v3, s16
	s_mov_b64 s[10:11], exec
	v_lshrrev_b32_e32 v3, 21, v3
	s_andn2_saveexec_b64 s[12:13], s[12:13]
	s_cbranch_execnz .LBB17_2063
.LBB17_1778:
	s_or_b64 exec, exec, s[12:13]
	v_mov_b32_e32 v7, 0
	s_and_saveexec_b64 s[12:13], s[10:11]
.LBB17_1779:
	v_lshrrev_b32_e32 v7, 24, v2
	s_movk_i32 s10, 0x80
	v_and_or_b32 v7, v7, s10, v3
.LBB17_1780:
	s_or_b64 exec, exec, s[12:13]
.LBB17_1781:
	s_or_b64 exec, exec, s[2:3]
	s_mov_b64 s[2:3], 0
	global_store_byte v[0:1], v7, off
.LBB17_1782:
	s_and_b64 vcc, exec, s[2:3]
	s_cbranch_vccz .LBB17_1792
; %bb.1783:
	v_and_b32_e32 v7, 0x7fffffff, v2
	s_mov_b32 s2, 0x43f00000
	v_cmp_gt_u32_e32 vcc, s2, v7
                                        ; implicit-def: $vgpr3
	s_and_saveexec_b64 s[2:3], vcc
	s_xor_b64 s[2:3], exec, s[2:3]
	s_cbranch_execz .LBB17_1789
; %bb.1784:
	s_mov_b32 s10, 0x3c7fffff
	v_cmp_lt_u32_e32 vcc, s10, v7
                                        ; implicit-def: $vgpr3
	s_and_saveexec_b64 s[10:11], vcc
	s_xor_b64 s[10:11], exec, s[10:11]
; %bb.1785:
	v_bfe_u32 v3, v2, 20, 1
	s_mov_b32 s12, 0x407ffff
	v_add3_u32 v3, v2, v3, s12
	v_lshrrev_b32_e32 v7, 20, v3
	v_and_b32_e32 v3, 0xff00000, v3
	s_mov_b32 s12, 0x7f00000
	v_mov_b32_e32 v8, 0x7e
	v_cmp_ne_u32_e32 vcc, s12, v3
	v_cndmask_b32_e32 v3, v8, v7, vcc
; %bb.1786:
	s_andn2_saveexec_b64 s[10:11], s[10:11]
; %bb.1787:
	s_mov_b32 s12, 0x46800000
	v_add_f32_e64 v3, |v2|, s12
; %bb.1788:
	s_or_b64 exec, exec, s[10:11]
                                        ; implicit-def: $vgpr7
.LBB17_1789:
	s_andn2_saveexec_b64 s[2:3], s[2:3]
; %bb.1790:
	s_mov_b32 s10, 0x7f800000
	v_mov_b32_e32 v3, 0x7e
	v_mov_b32_e32 v8, 0x7f
	v_cmp_lt_u32_e32 vcc, s10, v7
	v_cndmask_b32_e32 v3, v3, v8, vcc
; %bb.1791:
	s_or_b64 exec, exec, s[2:3]
	v_lshrrev_b32_e32 v7, 24, v2
	s_movk_i32 s2, 0x80
	v_and_or_b32 v3, v7, s2, v3
	global_store_byte v[0:1], v3, off
.LBB17_1792:
	s_mov_b64 s[2:3], 0
.LBB17_1793:
	s_andn2_b64 vcc, exec, s[2:3]
	s_cbranch_vccnz .LBB17_1803
; %bb.1794:
	v_and_b32_e32 v7, 0x7fffffff, v2
	s_mov_b32 s2, 0x47800000
	v_cmp_gt_u32_e32 vcc, s2, v7
                                        ; implicit-def: $vgpr3
	s_and_saveexec_b64 s[2:3], vcc
	s_xor_b64 s[2:3], exec, s[2:3]
	s_cbranch_execz .LBB17_1800
; %bb.1795:
	s_mov_b32 s10, 0x387fffff
	v_cmp_lt_u32_e32 vcc, s10, v7
                                        ; implicit-def: $vgpr3
	s_and_saveexec_b64 s[10:11], vcc
	s_xor_b64 s[10:11], exec, s[10:11]
; %bb.1796:
	v_bfe_u32 v3, v2, 21, 1
	s_mov_b32 s12, 0x80fffff
	v_add3_u32 v3, v2, v3, s12
	v_lshrrev_b32_e32 v3, 21, v3
; %bb.1797:
	s_andn2_saveexec_b64 s[10:11], s[10:11]
; %bb.1798:
	s_mov_b32 s12, 0x43000000
	v_add_f32_e64 v3, |v2|, s12
; %bb.1799:
	s_or_b64 exec, exec, s[10:11]
                                        ; implicit-def: $vgpr7
.LBB17_1800:
	s_andn2_saveexec_b64 s[2:3], s[2:3]
; %bb.1801:
	s_mov_b32 s10, 0x7f800000
	v_mov_b32_e32 v3, 0x7c
	v_mov_b32_e32 v8, 0x7f
	v_cmp_lt_u32_e32 vcc, s10, v7
	v_cndmask_b32_e32 v3, v3, v8, vcc
; %bb.1802:
	s_or_b64 exec, exec, s[2:3]
	v_lshrrev_b32_e32 v7, 24, v2
	s_movk_i32 s2, 0x80
	v_and_or_b32 v3, v7, s2, v3
	global_store_byte v[0:1], v3, off
.LBB17_1803:
	s_mov_b64 s[2:3], 0
	s_mov_b64 s[10:11], -1
.LBB17_1804:
	s_andn2_b64 vcc, exec, s[2:3]
	s_mov_b64 s[2:3], 0
	s_cbranch_vccnz .LBB17_1811
; %bb.1805:
	s_cmp_gt_i32 s19, 14
	s_mov_b64 s[12:13], -1
	s_cbranch_scc0 .LBB17_1809
; %bb.1806:
	s_cmp_eq_u32 s19, 15
	s_mov_b64 s[0:1], -1
	s_cbranch_scc0 .LBB17_1808
; %bb.1807:
	v_bfe_u32 v3, v2, 16, 1
	s_movk_i32 s0, 0x7fff
	v_add3_u32 v3, v2, v3, s0
	v_cmp_o_f32_e32 vcc, v2, v2
	v_mov_b32_e32 v7, 0x7fc0
	v_cndmask_b32_sdwa v3, v7, v3, vcc dst_sel:DWORD dst_unused:UNUSED_PAD src0_sel:DWORD src1_sel:WORD_1
	global_store_short v[0:1], v3, off
	s_mov_b64 s[0:1], 0
	s_mov_b64 s[10:11], -1
.LBB17_1808:
	s_mov_b64 s[12:13], 0
.LBB17_1809:
	s_and_b64 vcc, exec, s[12:13]
	s_cbranch_vccz .LBB17_1811
; %bb.1810:
	s_cmp_lg_u32 s19, 11
	s_mov_b64 s[2:3], -1
	s_cselect_b64 s[0:1], -1, 0
.LBB17_1811:
	s_and_b64 vcc, exec, s[0:1]
	s_cbranch_vccnz .LBB17_2061
; %bb.1812:
	s_andn2_b64 vcc, exec, s[2:3]
	s_cbranch_vccnz .LBB17_1814
.LBB17_1813:
	v_cmp_neq_f32_e32 vcc, 0, v2
	v_cndmask_b32_e64 v3, 0, 1, vcc
	s_mov_b64 s[10:11], -1
	global_store_byte v[0:1], v3, off
.LBB17_1814:
	s_mov_b64 s[0:1], 0
	s_branch .LBB17_1816
.LBB17_1815:
	s_mov_b64 s[0:1], -1
	s_mov_b64 s[10:11], 0
.LBB17_1816:
	s_and_b64 vcc, exec, s[0:1]
	s_cbranch_vccz .LBB17_1855
; %bb.1817:
	s_and_b32 s2, 0xffff, s20
	s_cmp_lt_i32 s2, 5
	s_mov_b64 s[0:1], -1
	s_cbranch_scc1 .LBB17_1838
; %bb.1818:
	s_cmp_lt_i32 s2, 8
	s_cbranch_scc1 .LBB17_1828
; %bb.1819:
	s_cmp_lt_i32 s2, 9
	s_cbranch_scc1 .LBB17_1825
; %bb.1820:
	s_cmp_gt_i32 s2, 9
	s_cbranch_scc0 .LBB17_1822
; %bb.1821:
	v_cvt_f64_f32_e32 v[7:8], v2
	v_mov_b32_e32 v9, 0
	v_mov_b32_e32 v10, v9
	s_mov_b64 s[0:1], 0
	global_store_dwordx4 v[0:1], v[7:10], off
.LBB17_1822:
	s_andn2_b64 vcc, exec, s[0:1]
	s_cbranch_vccnz .LBB17_1824
; %bb.1823:
	v_mov_b32_e32 v3, 0
	global_store_dwordx2 v[0:1], v[2:3], off
.LBB17_1824:
	s_mov_b64 s[0:1], 0
.LBB17_1825:
	s_andn2_b64 vcc, exec, s[0:1]
	s_cbranch_vccnz .LBB17_1827
; %bb.1826:
	v_cvt_f16_f32_e32 v3, v2
	global_store_dword v[0:1], v3, off
.LBB17_1827:
	s_mov_b64 s[0:1], 0
.LBB17_1828:
	s_andn2_b64 vcc, exec, s[0:1]
	s_cbranch_vccnz .LBB17_1837
; %bb.1829:
	s_cmp_lt_i32 s2, 6
	s_mov_b64 s[0:1], -1
	s_cbranch_scc1 .LBB17_1835
; %bb.1830:
	s_cmp_gt_i32 s2, 6
	s_cbranch_scc0 .LBB17_1832
; %bb.1831:
	v_cvt_f64_f32_e32 v[7:8], v2
	s_mov_b64 s[0:1], 0
	global_store_dwordx2 v[0:1], v[7:8], off
.LBB17_1832:
	s_andn2_b64 vcc, exec, s[0:1]
	s_cbranch_vccnz .LBB17_1834
; %bb.1833:
	global_store_dword v[0:1], v2, off
.LBB17_1834:
	s_mov_b64 s[0:1], 0
.LBB17_1835:
	s_andn2_b64 vcc, exec, s[0:1]
	s_cbranch_vccnz .LBB17_1837
; %bb.1836:
	v_cvt_f16_f32_e32 v3, v2
	global_store_short v[0:1], v3, off
.LBB17_1837:
	s_mov_b64 s[0:1], 0
.LBB17_1838:
	s_andn2_b64 vcc, exec, s[0:1]
	s_cbranch_vccnz .LBB17_1854
; %bb.1839:
	s_cmp_lt_i32 s2, 2
	s_mov_b64 s[0:1], -1
	s_cbranch_scc1 .LBB17_1849
; %bb.1840:
	s_cmp_lt_i32 s2, 3
	s_cbranch_scc1 .LBB17_1846
; %bb.1841:
	s_cmp_gt_i32 s2, 3
	s_cbranch_scc0 .LBB17_1843
; %bb.1842:
	v_trunc_f32_e32 v3, v2
	s_mov_b32 s0, 0x2f800000
	v_mul_f32_e64 v7, |v3|, s0
	v_floor_f32_e32 v7, v7
	s_mov_b32 s0, 0xcf800000
	v_cvt_u32_f32_e32 v8, v7
	v_fma_f32 v7, v7, s0, |v3|
	v_cvt_u32_f32_e32 v7, v7
	v_ashrrev_i32_e32 v3, 31, v3
	v_xor_b32_e32 v8, v8, v3
	s_mov_b64 s[0:1], 0
	v_xor_b32_e32 v7, v7, v3
	v_sub_co_u32_e32 v7, vcc, v7, v3
	v_subb_co_u32_e32 v8, vcc, v8, v3, vcc
	global_store_dwordx2 v[0:1], v[7:8], off
.LBB17_1843:
	s_andn2_b64 vcc, exec, s[0:1]
	s_cbranch_vccnz .LBB17_1845
; %bb.1844:
	v_cvt_i32_f32_e32 v3, v2
	global_store_dword v[0:1], v3, off
.LBB17_1845:
	s_mov_b64 s[0:1], 0
.LBB17_1846:
	s_andn2_b64 vcc, exec, s[0:1]
	s_cbranch_vccnz .LBB17_1848
; %bb.1847:
	v_cvt_i32_f32_e32 v3, v2
	global_store_short v[0:1], v3, off
.LBB17_1848:
	s_mov_b64 s[0:1], 0
.LBB17_1849:
	s_andn2_b64 vcc, exec, s[0:1]
	s_cbranch_vccnz .LBB17_1854
; %bb.1850:
	s_cmp_gt_i32 s2, 0
	s_mov_b64 s[0:1], -1
	s_cbranch_scc0 .LBB17_1852
; %bb.1851:
	v_cvt_i32_f32_e32 v3, v2
	s_mov_b64 s[0:1], 0
	global_store_byte v[0:1], v3, off
.LBB17_1852:
	s_andn2_b64 vcc, exec, s[0:1]
	s_cbranch_vccnz .LBB17_1854
; %bb.1853:
	v_trunc_f32_e32 v2, v2
	s_mov_b32 s0, 0x2f800000
	v_mul_f32_e64 v3, |v2|, s0
	v_floor_f32_e32 v3, v3
	s_mov_b32 s0, 0xcf800000
	v_fma_f32 v3, v3, s0, |v2|
	v_cvt_u32_f32_e32 v3, v3
	v_ashrrev_i32_e32 v2, 31, v2
	v_xor_b32_e32 v3, v3, v2
	v_sub_u32_e32 v2, v3, v2
	global_store_byte v[0:1], v2, off
.LBB17_1854:
	s_mov_b64 s[10:11], -1
.LBB17_1855:
	s_andn2_b64 vcc, exec, s[10:11]
	s_cbranch_vccnz .LBB17_2051
; %bb.1856:
	v_add_u32_e32 v2, s18, v5
	v_ashrrev_i32_e32 v1, 31, v2
	v_mov_b32_e32 v3, s9
	v_add_co_u32_e32 v0, vcc, s8, v2
	s_cmp_lt_i32 s20, 11
	v_addc_co_u32_e32 v1, vcc, v3, v1, vcc
	s_cbranch_scc1 .LBB17_1934
; %bb.1857:
	s_and_b32 s19, 0xffff, s20
	s_mov_b64 s[12:13], -1
	s_mov_b64 s[2:3], 0
	s_cmp_gt_i32 s19, 25
	s_mov_b64 s[10:11], 0
	s_mov_b64 s[0:1], 0
	s_cbranch_scc0 .LBB17_1890
; %bb.1858:
	s_cmp_gt_i32 s19, 28
	s_cbranch_scc0 .LBB17_1873
; %bb.1859:
	s_cmp_gt_i32 s19, 43
	;; [unrolled: 3-line block ×3, first 2 shown]
	s_cbranch_scc0 .LBB17_1863
; %bb.1861:
	s_mov_b64 s[0:1], -1
	s_mov_b64 s[12:13], 0
	s_cmp_eq_u32 s19, 46
	s_cbranch_scc0 .LBB17_1863
; %bb.1862:
	v_bfe_u32 v3, v4, 16, 1
	s_movk_i32 s0, 0x7fff
	v_add3_u32 v3, v4, v3, s0
	v_cmp_o_f32_e32 vcc, v4, v4
	v_mov_b32_e32 v5, 0x7fc0
	v_cndmask_b32_sdwa v3, v5, v3, vcc dst_sel:DWORD dst_unused:UNUSED_PAD src0_sel:DWORD src1_sel:WORD_1
	global_store_dword v[0:1], v3, off
	s_mov_b64 s[0:1], 0
	s_mov_b64 s[10:11], -1
.LBB17_1863:
	s_and_b64 vcc, exec, s[12:13]
	s_cbranch_vccz .LBB17_1868
; %bb.1864:
	s_cmp_eq_u32 s19, 44
	s_mov_b64 s[0:1], -1
	s_cbranch_scc0 .LBB17_1868
; %bb.1865:
	v_bfe_u32 v3, v4, 23, 8
	s_movk_i32 s0, 0xff
	v_cmp_ne_u32_e32 vcc, s0, v3
	v_mov_b32_e32 v5, 0xff
	s_and_saveexec_b64 s[10:11], vcc
; %bb.1866:
	s_mov_b32 s0, 0x3fffff
	v_and_b32_e32 v7, 0x400000, v4
	v_and_or_b32 v3, v4, s0, v3
	v_cmp_ne_u32_e32 vcc, 0, v7
	v_cmp_ne_u32_e64 s[0:1], 0, v3
	s_and_b64 s[0:1], vcc, s[0:1]
	v_lshrrev_b32_e32 v5, 23, v4
	v_cndmask_b32_e64 v3, 0, 1, s[0:1]
	v_add_u32_e32 v5, v5, v3
; %bb.1867:
	s_or_b64 exec, exec, s[10:11]
	s_mov_b64 s[0:1], 0
	s_mov_b64 s[10:11], -1
	global_store_byte v[0:1], v5, off
.LBB17_1868:
	s_mov_b64 s[12:13], 0
.LBB17_1869:
	s_and_b64 vcc, exec, s[12:13]
	s_cbranch_vccz .LBB17_1872
; %bb.1870:
	s_cmp_eq_u32 s19, 29
	s_mov_b64 s[0:1], -1
	s_cbranch_scc0 .LBB17_1872
; %bb.1871:
	v_trunc_f32_e32 v3, v4
	v_mul_f32_e32 v5, 0x2f800000, v3
	v_floor_f32_e32 v5, v5
	v_fmac_f32_e32 v3, 0xcf800000, v5
	v_cvt_u32_f32_e32 v8, v5
	v_cvt_u32_f32_e32 v7, v3
	s_mov_b64 s[0:1], 0
	s_mov_b64 s[10:11], -1
	global_store_dwordx2 v[0:1], v[7:8], off
.LBB17_1872:
	s_mov_b64 s[12:13], 0
.LBB17_1873:
	s_and_b64 vcc, exec, s[12:13]
	s_cbranch_vccz .LBB17_1889
; %bb.1874:
	s_cmp_lt_i32 s19, 27
	s_mov_b64 s[10:11], -1
	s_cbranch_scc1 .LBB17_1880
; %bb.1875:
	v_cvt_u32_f32_e32 v3, v4
	s_cmp_gt_i32 s19, 27
	s_cbranch_scc0 .LBB17_1877
; %bb.1876:
	s_mov_b64 s[10:11], 0
	global_store_dword v[0:1], v3, off
.LBB17_1877:
	s_andn2_b64 vcc, exec, s[10:11]
	s_cbranch_vccnz .LBB17_1879
; %bb.1878:
	global_store_short v[0:1], v3, off
.LBB17_1879:
	s_mov_b64 s[10:11], 0
.LBB17_1880:
	s_andn2_b64 vcc, exec, s[10:11]
	s_cbranch_vccnz .LBB17_1888
; %bb.1881:
	v_and_b32_e32 v3, 0x7fffffff, v4
	s_mov_b32 s10, 0x43800000
	v_cmp_gt_u32_e32 vcc, s10, v3
	v_mov_b32_e32 v5, 0x80
	s_and_saveexec_b64 s[10:11], vcc
	s_cbranch_execz .LBB17_1887
; %bb.1882:
	s_mov_b32 s12, 0x3bffffff
	v_cmp_lt_u32_e32 vcc, s12, v3
	s_mov_b64 s[12:13], 0
                                        ; implicit-def: $vgpr3
	s_and_saveexec_b64 s[16:17], vcc
	s_xor_b64 s[16:17], exec, s[16:17]
	s_cbranch_execz .LBB17_2064
; %bb.1883:
	v_bfe_u32 v3, v4, 20, 1
	s_mov_b32 s21, 0x487ffff
	v_add3_u32 v3, v4, v3, s21
	s_mov_b64 s[12:13], exec
	v_lshrrev_b32_e32 v3, 20, v3
	s_andn2_saveexec_b64 s[16:17], s[16:17]
	s_cbranch_execnz .LBB17_2065
.LBB17_1884:
	s_or_b64 exec, exec, s[16:17]
	v_mov_b32_e32 v5, 0
	s_and_saveexec_b64 s[16:17], s[12:13]
.LBB17_1885:
	v_lshrrev_b32_e32 v5, 24, v4
	s_movk_i32 s12, 0x80
	v_and_or_b32 v5, v5, s12, v3
.LBB17_1886:
	s_or_b64 exec, exec, s[16:17]
.LBB17_1887:
	s_or_b64 exec, exec, s[10:11]
	global_store_byte v[0:1], v5, off
.LBB17_1888:
	s_mov_b64 s[10:11], -1
.LBB17_1889:
	s_mov_b64 s[12:13], 0
.LBB17_1890:
	s_and_b64 vcc, exec, s[12:13]
	s_cbranch_vccz .LBB17_1930
; %bb.1891:
	s_cmp_gt_i32 s19, 22
	s_mov_b64 s[2:3], -1
	s_cbranch_scc0 .LBB17_1923
; %bb.1892:
	s_cmp_lt_i32 s19, 24
	s_cbranch_scc1 .LBB17_1912
; %bb.1893:
	s_cmp_gt_i32 s19, 24
	s_cbranch_scc0 .LBB17_1901
; %bb.1894:
	v_and_b32_e32 v3, 0x7fffffff, v4
	s_mov_b32 s2, 0x47800000
	v_cmp_gt_u32_e32 vcc, s2, v3
	v_mov_b32_e32 v5, 0x80
	s_and_saveexec_b64 s[2:3], vcc
	s_cbranch_execz .LBB17_1900
; %bb.1895:
	s_mov_b32 s10, 0x37ffffff
	v_cmp_lt_u32_e32 vcc, s10, v3
	s_mov_b64 s[10:11], 0
                                        ; implicit-def: $vgpr3
	s_and_saveexec_b64 s[12:13], vcc
	s_xor_b64 s[12:13], exec, s[12:13]
	s_cbranch_execz .LBB17_2067
; %bb.1896:
	v_bfe_u32 v3, v4, 21, 1
	s_mov_b32 s16, 0x88fffff
	v_add3_u32 v3, v4, v3, s16
	s_mov_b64 s[10:11], exec
	v_lshrrev_b32_e32 v3, 21, v3
	s_andn2_saveexec_b64 s[12:13], s[12:13]
	s_cbranch_execnz .LBB17_2068
.LBB17_1897:
	s_or_b64 exec, exec, s[12:13]
	v_mov_b32_e32 v5, 0
	s_and_saveexec_b64 s[12:13], s[10:11]
.LBB17_1898:
	v_lshrrev_b32_e32 v5, 24, v4
	s_movk_i32 s10, 0x80
	v_and_or_b32 v5, v5, s10, v3
.LBB17_1899:
	s_or_b64 exec, exec, s[12:13]
.LBB17_1900:
	s_or_b64 exec, exec, s[2:3]
	s_mov_b64 s[2:3], 0
	global_store_byte v[0:1], v5, off
.LBB17_1901:
	s_and_b64 vcc, exec, s[2:3]
	s_cbranch_vccz .LBB17_1911
; %bb.1902:
	v_and_b32_e32 v5, 0x7fffffff, v4
	s_mov_b32 s2, 0x43f00000
	v_cmp_gt_u32_e32 vcc, s2, v5
                                        ; implicit-def: $vgpr3
	s_and_saveexec_b64 s[2:3], vcc
	s_xor_b64 s[2:3], exec, s[2:3]
	s_cbranch_execz .LBB17_1908
; %bb.1903:
	s_mov_b32 s10, 0x3c7fffff
	v_cmp_lt_u32_e32 vcc, s10, v5
                                        ; implicit-def: $vgpr3
	s_and_saveexec_b64 s[10:11], vcc
	s_xor_b64 s[10:11], exec, s[10:11]
; %bb.1904:
	v_bfe_u32 v3, v4, 20, 1
	s_mov_b32 s12, 0x407ffff
	v_add3_u32 v3, v4, v3, s12
	v_lshrrev_b32_e32 v5, 20, v3
	v_and_b32_e32 v3, 0xff00000, v3
	s_mov_b32 s12, 0x7f00000
	v_mov_b32_e32 v7, 0x7e
	v_cmp_ne_u32_e32 vcc, s12, v3
	v_cndmask_b32_e32 v3, v7, v5, vcc
; %bb.1905:
	s_andn2_saveexec_b64 s[10:11], s[10:11]
; %bb.1906:
	s_mov_b32 s12, 0x46800000
	v_add_f32_e64 v3, |v4|, s12
; %bb.1907:
	s_or_b64 exec, exec, s[10:11]
                                        ; implicit-def: $vgpr5
.LBB17_1908:
	s_andn2_saveexec_b64 s[2:3], s[2:3]
; %bb.1909:
	s_mov_b32 s10, 0x7f800000
	v_mov_b32_e32 v3, 0x7e
	v_mov_b32_e32 v7, 0x7f
	v_cmp_lt_u32_e32 vcc, s10, v5
	v_cndmask_b32_e32 v3, v3, v7, vcc
; %bb.1910:
	s_or_b64 exec, exec, s[2:3]
	v_lshrrev_b32_e32 v5, 24, v4
	s_movk_i32 s2, 0x80
	v_and_or_b32 v3, v5, s2, v3
	global_store_byte v[0:1], v3, off
.LBB17_1911:
	s_mov_b64 s[2:3], 0
.LBB17_1912:
	s_andn2_b64 vcc, exec, s[2:3]
	s_cbranch_vccnz .LBB17_1922
; %bb.1913:
	v_and_b32_e32 v5, 0x7fffffff, v4
	s_mov_b32 s2, 0x47800000
	v_cmp_gt_u32_e32 vcc, s2, v5
                                        ; implicit-def: $vgpr3
	s_and_saveexec_b64 s[2:3], vcc
	s_xor_b64 s[2:3], exec, s[2:3]
	s_cbranch_execz .LBB17_1919
; %bb.1914:
	s_mov_b32 s10, 0x387fffff
	v_cmp_lt_u32_e32 vcc, s10, v5
                                        ; implicit-def: $vgpr3
	s_and_saveexec_b64 s[10:11], vcc
	s_xor_b64 s[10:11], exec, s[10:11]
; %bb.1915:
	v_bfe_u32 v3, v4, 21, 1
	s_mov_b32 s12, 0x80fffff
	v_add3_u32 v3, v4, v3, s12
	v_lshrrev_b32_e32 v3, 21, v3
; %bb.1916:
	s_andn2_saveexec_b64 s[10:11], s[10:11]
; %bb.1917:
	s_mov_b32 s12, 0x43000000
	v_add_f32_e64 v3, |v4|, s12
; %bb.1918:
	s_or_b64 exec, exec, s[10:11]
                                        ; implicit-def: $vgpr5
.LBB17_1919:
	s_andn2_saveexec_b64 s[2:3], s[2:3]
; %bb.1920:
	s_mov_b32 s10, 0x7f800000
	v_mov_b32_e32 v3, 0x7c
	v_mov_b32_e32 v7, 0x7f
	v_cmp_lt_u32_e32 vcc, s10, v5
	v_cndmask_b32_e32 v3, v3, v7, vcc
; %bb.1921:
	s_or_b64 exec, exec, s[2:3]
	v_lshrrev_b32_e32 v5, 24, v4
	s_movk_i32 s2, 0x80
	v_and_or_b32 v3, v5, s2, v3
	global_store_byte v[0:1], v3, off
.LBB17_1922:
	s_mov_b64 s[2:3], 0
	s_mov_b64 s[10:11], -1
.LBB17_1923:
	s_andn2_b64 vcc, exec, s[2:3]
	s_mov_b64 s[2:3], 0
	s_cbranch_vccnz .LBB17_1930
; %bb.1924:
	s_cmp_gt_i32 s19, 14
	s_mov_b64 s[12:13], -1
	s_cbranch_scc0 .LBB17_1928
; %bb.1925:
	s_cmp_eq_u32 s19, 15
	s_mov_b64 s[0:1], -1
	s_cbranch_scc0 .LBB17_1927
; %bb.1926:
	v_bfe_u32 v3, v4, 16, 1
	s_movk_i32 s0, 0x7fff
	v_add3_u32 v3, v4, v3, s0
	v_cmp_o_f32_e32 vcc, v4, v4
	v_mov_b32_e32 v5, 0x7fc0
	v_cndmask_b32_sdwa v3, v5, v3, vcc dst_sel:DWORD dst_unused:UNUSED_PAD src0_sel:DWORD src1_sel:WORD_1
	global_store_short v[0:1], v3, off
	s_mov_b64 s[0:1], 0
	s_mov_b64 s[10:11], -1
.LBB17_1927:
	s_mov_b64 s[12:13], 0
.LBB17_1928:
	s_and_b64 vcc, exec, s[12:13]
	s_cbranch_vccz .LBB17_1930
; %bb.1929:
	s_cmp_lg_u32 s19, 11
	s_mov_b64 s[2:3], -1
	s_cselect_b64 s[0:1], -1, 0
.LBB17_1930:
	s_and_b64 vcc, exec, s[0:1]
	s_cbranch_vccnz .LBB17_2066
; %bb.1931:
	s_andn2_b64 vcc, exec, s[2:3]
	s_cbranch_vccnz .LBB17_1933
.LBB17_1932:
	v_cmp_neq_f32_e32 vcc, 0, v4
	v_cndmask_b32_e64 v3, 0, 1, vcc
	s_mov_b64 s[10:11], -1
	global_store_byte v[0:1], v3, off
.LBB17_1933:
	s_mov_b64 s[0:1], 0
	s_branch .LBB17_1935
.LBB17_1934:
	s_mov_b64 s[0:1], -1
	s_mov_b64 s[10:11], 0
.LBB17_1935:
	s_and_b64 vcc, exec, s[0:1]
	s_cbranch_vccz .LBB17_1974
; %bb.1936:
	s_and_b32 s2, 0xffff, s20
	s_cmp_lt_i32 s2, 5
	s_mov_b64 s[0:1], -1
	s_cbranch_scc1 .LBB17_1957
; %bb.1937:
	s_cmp_lt_i32 s2, 8
	s_cbranch_scc1 .LBB17_1947
; %bb.1938:
	s_cmp_lt_i32 s2, 9
	s_cbranch_scc1 .LBB17_1944
; %bb.1939:
	s_cmp_gt_i32 s2, 9
	s_cbranch_scc0 .LBB17_1941
; %bb.1940:
	v_cvt_f64_f32_e32 v[7:8], v4
	v_mov_b32_e32 v9, 0
	v_mov_b32_e32 v10, v9
	s_mov_b64 s[0:1], 0
	global_store_dwordx4 v[0:1], v[7:10], off
.LBB17_1941:
	s_andn2_b64 vcc, exec, s[0:1]
	s_cbranch_vccnz .LBB17_1943
; %bb.1942:
	v_mov_b32_e32 v5, 0
	global_store_dwordx2 v[0:1], v[4:5], off
.LBB17_1943:
	s_mov_b64 s[0:1], 0
.LBB17_1944:
	s_andn2_b64 vcc, exec, s[0:1]
	s_cbranch_vccnz .LBB17_1946
; %bb.1945:
	v_cvt_f16_f32_e32 v3, v4
	global_store_dword v[0:1], v3, off
.LBB17_1946:
	s_mov_b64 s[0:1], 0
.LBB17_1947:
	s_andn2_b64 vcc, exec, s[0:1]
	s_cbranch_vccnz .LBB17_1956
; %bb.1948:
	s_cmp_lt_i32 s2, 6
	s_mov_b64 s[0:1], -1
	s_cbranch_scc1 .LBB17_1954
; %bb.1949:
	s_cmp_gt_i32 s2, 6
	s_cbranch_scc0 .LBB17_1951
; %bb.1950:
	v_cvt_f64_f32_e32 v[7:8], v4
	s_mov_b64 s[0:1], 0
	global_store_dwordx2 v[0:1], v[7:8], off
.LBB17_1951:
	s_andn2_b64 vcc, exec, s[0:1]
	s_cbranch_vccnz .LBB17_1953
; %bb.1952:
	global_store_dword v[0:1], v4, off
.LBB17_1953:
	s_mov_b64 s[0:1], 0
.LBB17_1954:
	s_andn2_b64 vcc, exec, s[0:1]
	s_cbranch_vccnz .LBB17_1956
; %bb.1955:
	v_cvt_f16_f32_e32 v3, v4
	global_store_short v[0:1], v3, off
.LBB17_1956:
	s_mov_b64 s[0:1], 0
.LBB17_1957:
	s_andn2_b64 vcc, exec, s[0:1]
	s_cbranch_vccnz .LBB17_1973
; %bb.1958:
	s_cmp_lt_i32 s2, 2
	s_mov_b64 s[0:1], -1
	s_cbranch_scc1 .LBB17_1968
; %bb.1959:
	s_cmp_lt_i32 s2, 3
	s_cbranch_scc1 .LBB17_1965
; %bb.1960:
	s_cmp_gt_i32 s2, 3
	s_cbranch_scc0 .LBB17_1962
; %bb.1961:
	v_trunc_f32_e32 v3, v4
	s_mov_b32 s0, 0x2f800000
	v_mul_f32_e64 v5, |v3|, s0
	v_floor_f32_e32 v5, v5
	s_mov_b32 s0, 0xcf800000
	v_cvt_u32_f32_e32 v7, v5
	v_fma_f32 v5, v5, s0, |v3|
	v_cvt_u32_f32_e32 v5, v5
	v_ashrrev_i32_e32 v3, 31, v3
	v_xor_b32_e32 v8, v7, v3
	s_mov_b64 s[0:1], 0
	v_xor_b32_e32 v5, v5, v3
	v_sub_co_u32_e32 v7, vcc, v5, v3
	v_subb_co_u32_e32 v8, vcc, v8, v3, vcc
	global_store_dwordx2 v[0:1], v[7:8], off
.LBB17_1962:
	s_andn2_b64 vcc, exec, s[0:1]
	s_cbranch_vccnz .LBB17_1964
; %bb.1963:
	v_cvt_i32_f32_e32 v3, v4
	global_store_dword v[0:1], v3, off
.LBB17_1964:
	s_mov_b64 s[0:1], 0
.LBB17_1965:
	s_andn2_b64 vcc, exec, s[0:1]
	s_cbranch_vccnz .LBB17_1967
; %bb.1966:
	v_cvt_i32_f32_e32 v3, v4
	global_store_short v[0:1], v3, off
.LBB17_1967:
	s_mov_b64 s[0:1], 0
.LBB17_1968:
	s_andn2_b64 vcc, exec, s[0:1]
	s_cbranch_vccnz .LBB17_1973
; %bb.1969:
	s_cmp_gt_i32 s2, 0
	s_mov_b64 s[0:1], -1
	s_cbranch_scc0 .LBB17_1971
; %bb.1970:
	v_cvt_i32_f32_e32 v3, v4
	s_mov_b64 s[0:1], 0
	global_store_byte v[0:1], v3, off
.LBB17_1971:
	s_andn2_b64 vcc, exec, s[0:1]
	s_cbranch_vccnz .LBB17_1973
; %bb.1972:
	v_trunc_f32_e32 v3, v4
	s_mov_b32 s0, 0x2f800000
	v_mul_f32_e64 v4, |v3|, s0
	v_floor_f32_e32 v4, v4
	s_mov_b32 s0, 0xcf800000
	v_fma_f32 v4, v4, s0, |v3|
	v_cvt_u32_f32_e32 v4, v4
	v_ashrrev_i32_e32 v3, 31, v3
	v_xor_b32_e32 v4, v4, v3
	v_sub_u32_e32 v3, v4, v3
	global_store_byte v[0:1], v3, off
.LBB17_1973:
	s_mov_b64 s[10:11], -1
.LBB17_1974:
	s_andn2_b64 vcc, exec, s[10:11]
	s_cbranch_vccnz .LBB17_2051
; %bb.1975:
	v_add_u32_e32 v0, s18, v2
	v_ashrrev_i32_e32 v1, 31, v0
	v_mov_b32_e32 v2, s9
	v_add_co_u32_e32 v0, vcc, s8, v0
	s_cmp_lt_i32 s20, 11
	v_addc_co_u32_e32 v1, vcc, v2, v1, vcc
	s_cbranch_scc1 .LBB17_2052
; %bb.1976:
	s_and_b32 s16, 0xffff, s20
	s_mov_b64 s[8:9], -1
	s_mov_b64 s[2:3], 0
	s_cmp_gt_i32 s16, 25
	s_mov_b64 s[0:1], 0
	s_cbranch_scc0 .LBB17_2009
; %bb.1977:
	s_cmp_gt_i32 s16, 28
	s_cbranch_scc0 .LBB17_1993
; %bb.1978:
	s_cmp_gt_i32 s16, 43
	;; [unrolled: 3-line block ×3, first 2 shown]
	s_cbranch_scc0 .LBB17_1983
; %bb.1980:
	s_cmp_eq_u32 s16, 46
	s_mov_b64 s[0:1], -1
	s_cbranch_scc0 .LBB17_1982
; %bb.1981:
	v_bfe_u32 v2, v6, 16, 1
	s_movk_i32 s0, 0x7fff
	v_add3_u32 v2, v6, v2, s0
	v_cmp_o_f32_e32 vcc, v6, v6
	v_mov_b32_e32 v3, 0x7fc0
	v_cndmask_b32_sdwa v2, v3, v2, vcc dst_sel:DWORD dst_unused:UNUSED_PAD src0_sel:DWORD src1_sel:WORD_1
	global_store_dword v[0:1], v2, off
	s_mov_b64 s[0:1], 0
.LBB17_1982:
	s_mov_b64 s[8:9], 0
.LBB17_1983:
	s_and_b64 vcc, exec, s[8:9]
	s_cbranch_vccz .LBB17_1988
; %bb.1984:
	s_cmp_eq_u32 s16, 44
	s_mov_b64 s[0:1], -1
	s_cbranch_scc0 .LBB17_1988
; %bb.1985:
	v_bfe_u32 v2, v6, 23, 8
	s_movk_i32 s0, 0xff
	v_cmp_ne_u32_e32 vcc, s0, v2
	v_mov_b32_e32 v3, 0xff
	s_and_saveexec_b64 s[8:9], vcc
; %bb.1986:
	s_mov_b32 s0, 0x3fffff
	v_and_b32_e32 v4, 0x400000, v6
	v_and_or_b32 v2, v6, s0, v2
	v_cmp_ne_u32_e32 vcc, 0, v4
	v_cmp_ne_u32_e64 s[0:1], 0, v2
	s_and_b64 s[0:1], vcc, s[0:1]
	v_lshrrev_b32_e32 v3, 23, v6
	v_cndmask_b32_e64 v2, 0, 1, s[0:1]
	v_add_u32_e32 v3, v3, v2
; %bb.1987:
	s_or_b64 exec, exec, s[8:9]
	s_mov_b64 s[0:1], 0
	global_store_byte v[0:1], v3, off
.LBB17_1988:
	s_mov_b64 s[8:9], 0
.LBB17_1989:
	s_and_b64 vcc, exec, s[8:9]
	s_cbranch_vccz .LBB17_1992
; %bb.1990:
	s_cmp_eq_u32 s16, 29
	s_mov_b64 s[0:1], -1
	s_cbranch_scc0 .LBB17_1992
; %bb.1991:
	v_trunc_f32_e32 v2, v6
	v_mul_f32_e32 v3, 0x2f800000, v2
	v_floor_f32_e32 v4, v3
	v_fmac_f32_e32 v2, 0xcf800000, v4
	v_cvt_u32_f32_e32 v3, v4
	v_cvt_u32_f32_e32 v2, v2
	s_mov_b64 s[0:1], 0
	global_store_dwordx2 v[0:1], v[2:3], off
.LBB17_1992:
	s_mov_b64 s[8:9], 0
.LBB17_1993:
	s_and_b64 vcc, exec, s[8:9]
	s_cbranch_vccz .LBB17_2008
; %bb.1994:
	s_cmp_lt_i32 s16, 27
	s_mov_b64 s[8:9], -1
	s_cbranch_scc1 .LBB17_2000
; %bb.1995:
	v_cvt_u32_f32_e32 v2, v6
	s_cmp_gt_i32 s16, 27
	s_cbranch_scc0 .LBB17_1997
; %bb.1996:
	global_store_dword v[0:1], v2, off
	s_mov_b64 s[8:9], 0
.LBB17_1997:
	s_andn2_b64 vcc, exec, s[8:9]
	s_cbranch_vccnz .LBB17_1999
; %bb.1998:
	global_store_short v[0:1], v2, off
.LBB17_1999:
	s_mov_b64 s[8:9], 0
.LBB17_2000:
	s_andn2_b64 vcc, exec, s[8:9]
	s_cbranch_vccnz .LBB17_2008
; %bb.2001:
	v_and_b32_e32 v2, 0x7fffffff, v6
	s_mov_b32 s8, 0x43800000
	v_cmp_gt_u32_e32 vcc, s8, v2
	v_mov_b32_e32 v3, 0x80
	s_and_saveexec_b64 s[8:9], vcc
	s_cbranch_execz .LBB17_2007
; %bb.2002:
	s_mov_b32 s10, 0x3bffffff
	v_cmp_lt_u32_e32 vcc, s10, v2
	s_mov_b64 s[10:11], 0
                                        ; implicit-def: $vgpr2
	s_and_saveexec_b64 s[12:13], vcc
	s_xor_b64 s[12:13], exec, s[12:13]
	s_cbranch_execz .LBB17_2069
; %bb.2003:
	v_bfe_u32 v2, v6, 20, 1
	s_mov_b32 s17, 0x487ffff
	v_add3_u32 v2, v6, v2, s17
	s_mov_b64 s[10:11], exec
	v_lshrrev_b32_e32 v2, 20, v2
	s_andn2_saveexec_b64 s[12:13], s[12:13]
	s_cbranch_execnz .LBB17_2070
.LBB17_2004:
	s_or_b64 exec, exec, s[12:13]
	v_mov_b32_e32 v3, 0
	s_and_saveexec_b64 s[12:13], s[10:11]
.LBB17_2005:
	v_lshrrev_b32_e32 v3, 24, v6
	s_movk_i32 s10, 0x80
	v_and_or_b32 v3, v3, s10, v2
.LBB17_2006:
	s_or_b64 exec, exec, s[12:13]
.LBB17_2007:
	s_or_b64 exec, exec, s[8:9]
	global_store_byte v[0:1], v3, off
.LBB17_2008:
	s_mov_b64 s[8:9], 0
.LBB17_2009:
	s_and_b64 vcc, exec, s[8:9]
	s_cbranch_vccz .LBB17_2049
; %bb.2010:
	s_cmp_gt_i32 s16, 22
	s_mov_b64 s[2:3], -1
	s_cbranch_scc0 .LBB17_2042
; %bb.2011:
	s_cmp_lt_i32 s16, 24
	s_cbranch_scc1 .LBB17_2031
; %bb.2012:
	s_cmp_gt_i32 s16, 24
	s_cbranch_scc0 .LBB17_2020
; %bb.2013:
	v_and_b32_e32 v2, 0x7fffffff, v6
	s_mov_b32 s2, 0x47800000
	v_cmp_gt_u32_e32 vcc, s2, v2
	v_mov_b32_e32 v3, 0x80
	s_and_saveexec_b64 s[2:3], vcc
	s_cbranch_execz .LBB17_2019
; %bb.2014:
	s_mov_b32 s8, 0x37ffffff
	v_cmp_lt_u32_e32 vcc, s8, v2
	s_mov_b64 s[8:9], 0
                                        ; implicit-def: $vgpr2
	s_and_saveexec_b64 s[10:11], vcc
	s_xor_b64 s[10:11], exec, s[10:11]
	s_cbranch_execz .LBB17_2072
; %bb.2015:
	v_bfe_u32 v2, v6, 21, 1
	s_mov_b32 s12, 0x88fffff
	v_add3_u32 v2, v6, v2, s12
	s_mov_b64 s[8:9], exec
	v_lshrrev_b32_e32 v2, 21, v2
	s_andn2_saveexec_b64 s[10:11], s[10:11]
	s_cbranch_execnz .LBB17_2073
.LBB17_2016:
	s_or_b64 exec, exec, s[10:11]
	v_mov_b32_e32 v3, 0
	s_and_saveexec_b64 s[10:11], s[8:9]
.LBB17_2017:
	v_lshrrev_b32_e32 v3, 24, v6
	s_movk_i32 s8, 0x80
	v_and_or_b32 v3, v3, s8, v2
.LBB17_2018:
	s_or_b64 exec, exec, s[10:11]
.LBB17_2019:
	s_or_b64 exec, exec, s[2:3]
	s_mov_b64 s[2:3], 0
	global_store_byte v[0:1], v3, off
.LBB17_2020:
	s_and_b64 vcc, exec, s[2:3]
	s_cbranch_vccz .LBB17_2030
; %bb.2021:
	v_and_b32_e32 v3, 0x7fffffff, v6
	s_mov_b32 s2, 0x43f00000
	v_cmp_gt_u32_e32 vcc, s2, v3
                                        ; implicit-def: $vgpr2
	s_and_saveexec_b64 s[2:3], vcc
	s_xor_b64 s[2:3], exec, s[2:3]
	s_cbranch_execz .LBB17_2027
; %bb.2022:
	s_mov_b32 s8, 0x3c7fffff
	v_cmp_lt_u32_e32 vcc, s8, v3
                                        ; implicit-def: $vgpr2
	s_and_saveexec_b64 s[8:9], vcc
	s_xor_b64 s[8:9], exec, s[8:9]
; %bb.2023:
	v_bfe_u32 v2, v6, 20, 1
	s_mov_b32 s10, 0x407ffff
	v_add3_u32 v2, v6, v2, s10
	v_lshrrev_b32_e32 v3, 20, v2
	v_and_b32_e32 v2, 0xff00000, v2
	s_mov_b32 s10, 0x7f00000
	v_mov_b32_e32 v4, 0x7e
	v_cmp_ne_u32_e32 vcc, s10, v2
	v_cndmask_b32_e32 v2, v4, v3, vcc
; %bb.2024:
	s_andn2_saveexec_b64 s[8:9], s[8:9]
; %bb.2025:
	s_mov_b32 s10, 0x46800000
	v_add_f32_e64 v2, |v6|, s10
; %bb.2026:
	s_or_b64 exec, exec, s[8:9]
                                        ; implicit-def: $vgpr3
.LBB17_2027:
	s_andn2_saveexec_b64 s[2:3], s[2:3]
; %bb.2028:
	s_mov_b32 s8, 0x7f800000
	v_mov_b32_e32 v2, 0x7e
	v_mov_b32_e32 v4, 0x7f
	v_cmp_lt_u32_e32 vcc, s8, v3
	v_cndmask_b32_e32 v2, v2, v4, vcc
; %bb.2029:
	s_or_b64 exec, exec, s[2:3]
	v_lshrrev_b32_e32 v3, 24, v6
	s_movk_i32 s2, 0x80
	v_and_or_b32 v2, v3, s2, v2
	global_store_byte v[0:1], v2, off
.LBB17_2030:
	s_mov_b64 s[2:3], 0
.LBB17_2031:
	s_andn2_b64 vcc, exec, s[2:3]
	s_cbranch_vccnz .LBB17_2041
; %bb.2032:
	v_and_b32_e32 v3, 0x7fffffff, v6
	s_mov_b32 s2, 0x47800000
	v_cmp_gt_u32_e32 vcc, s2, v3
                                        ; implicit-def: $vgpr2
	s_and_saveexec_b64 s[2:3], vcc
	s_xor_b64 s[2:3], exec, s[2:3]
	s_cbranch_execz .LBB17_2038
; %bb.2033:
	s_mov_b32 s8, 0x387fffff
	v_cmp_lt_u32_e32 vcc, s8, v3
                                        ; implicit-def: $vgpr2
	s_and_saveexec_b64 s[8:9], vcc
	s_xor_b64 s[8:9], exec, s[8:9]
; %bb.2034:
	v_bfe_u32 v2, v6, 21, 1
	s_mov_b32 s10, 0x80fffff
	v_add3_u32 v2, v6, v2, s10
	v_lshrrev_b32_e32 v2, 21, v2
; %bb.2035:
	s_andn2_saveexec_b64 s[8:9], s[8:9]
; %bb.2036:
	s_mov_b32 s10, 0x43000000
	v_add_f32_e64 v2, |v6|, s10
; %bb.2037:
	s_or_b64 exec, exec, s[8:9]
                                        ; implicit-def: $vgpr3
.LBB17_2038:
	s_andn2_saveexec_b64 s[2:3], s[2:3]
; %bb.2039:
	s_mov_b32 s8, 0x7f800000
	v_mov_b32_e32 v2, 0x7c
	v_mov_b32_e32 v4, 0x7f
	v_cmp_lt_u32_e32 vcc, s8, v3
	v_cndmask_b32_e32 v2, v2, v4, vcc
; %bb.2040:
	s_or_b64 exec, exec, s[2:3]
	v_lshrrev_b32_e32 v3, 24, v6
	s_movk_i32 s2, 0x80
	v_and_or_b32 v2, v3, s2, v2
	global_store_byte v[0:1], v2, off
.LBB17_2041:
	s_mov_b64 s[2:3], 0
.LBB17_2042:
	s_andn2_b64 vcc, exec, s[2:3]
	s_mov_b64 s[2:3], 0
	s_cbranch_vccnz .LBB17_2049
; %bb.2043:
	s_cmp_gt_i32 s16, 14
	s_mov_b64 s[8:9], -1
	s_cbranch_scc0 .LBB17_2047
; %bb.2044:
	s_cmp_eq_u32 s16, 15
	s_mov_b64 s[0:1], -1
	s_cbranch_scc0 .LBB17_2046
; %bb.2045:
	v_bfe_u32 v2, v6, 16, 1
	s_movk_i32 s0, 0x7fff
	v_add3_u32 v2, v6, v2, s0
	v_cmp_o_f32_e32 vcc, v6, v6
	v_mov_b32_e32 v3, 0x7fc0
	v_cndmask_b32_sdwa v2, v3, v2, vcc dst_sel:DWORD dst_unused:UNUSED_PAD src0_sel:DWORD src1_sel:WORD_1
	global_store_short v[0:1], v2, off
	s_mov_b64 s[0:1], 0
.LBB17_2046:
	s_mov_b64 s[8:9], 0
.LBB17_2047:
	s_and_b64 vcc, exec, s[8:9]
	s_cbranch_vccz .LBB17_2049
; %bb.2048:
	s_cmp_lg_u32 s16, 11
	s_mov_b64 s[2:3], -1
	s_cselect_b64 s[0:1], -1, 0
.LBB17_2049:
	s_and_b64 vcc, exec, s[0:1]
	s_cbranch_vccnz .LBB17_2071
.LBB17_2050:
	s_mov_b64 s[0:1], 0
	s_branch .LBB17_1652
.LBB17_2051:
	s_mov_b64 s[0:1], 0
                                        ; implicit-def: $sgpr20
                                        ; implicit-def: $vgpr0_vgpr1
	s_branch .LBB17_1651
.LBB17_2052:
	s_mov_b64 s[2:3], 0
	s_mov_b64 s[0:1], -1
	s_branch .LBB17_1652
.LBB17_2053:
	s_trap 2
	s_or_b64 s[14:15], s[14:15], exec
	s_cbranch_execz .LBB17_1516
	s_branch .LBB17_1517
.LBB17_2054:
	s_andn2_saveexec_b64 s[18:19], s[18:19]
	s_cbranch_execz .LBB17_1600
.LBB17_2055:
	s_mov_b32 s21, 0x46000000
	v_add_f32_e64 v1, |v0|, s21
	v_and_b32_e32 v1, 0xff, v1
	v_cmp_ne_u32_e32 vcc, 0, v1
	s_andn2_b64 s[16:17], s[16:17], exec
	s_and_b64 s[22:23], vcc, exec
	s_or_b64 s[16:17], s[16:17], s[22:23]
	s_or_b64 exec, exec, s[18:19]
	v_mov_b32_e32 v5, 0
	s_and_saveexec_b64 s[18:19], s[16:17]
	s_cbranch_execnz .LBB17_1601
	s_branch .LBB17_1602
.LBB17_2056:
	s_trap 2
	s_or_b64 s[14:15], s[14:15], exec
	s_cbranch_execz .LBB17_1648
	s_branch .LBB17_1649
.LBB17_2057:
	s_andn2_saveexec_b64 s[16:17], s[16:17]
	s_cbranch_execz .LBB17_1613
.LBB17_2058:
	s_mov_b32 s18, 0x42800000
	v_add_f32_e64 v1, |v0|, s18
	v_and_b32_e32 v1, 0xff, v1
	v_cmp_ne_u32_e32 vcc, 0, v1
	s_andn2_b64 s[12:13], s[12:13], exec
	s_and_b64 s[18:19], vcc, exec
	s_or_b64 s[12:13], s[12:13], s[18:19]
	s_or_b64 exec, exec, s[16:17]
	v_mov_b32_e32 v5, 0
	s_and_saveexec_b64 s[16:17], s[12:13]
	s_cbranch_execnz .LBB17_1614
	s_branch .LBB17_1615
.LBB17_2059:
	s_andn2_saveexec_b64 s[16:17], s[16:17]
	s_cbranch_execz .LBB17_1765
.LBB17_2060:
	s_mov_b32 s21, 0x46000000
	v_add_f32_e64 v3, |v2|, s21
	v_and_b32_e32 v3, 0xff, v3
	v_cmp_ne_u32_e32 vcc, 0, v3
	s_andn2_b64 s[12:13], s[12:13], exec
	s_and_b64 s[22:23], vcc, exec
	s_or_b64 s[12:13], s[12:13], s[22:23]
	s_or_b64 exec, exec, s[16:17]
	v_mov_b32_e32 v7, 0
	s_and_saveexec_b64 s[16:17], s[12:13]
	s_cbranch_execnz .LBB17_1766
	s_branch .LBB17_1767
.LBB17_2061:
	s_trap 2
	s_or_b64 s[14:15], s[14:15], exec
	s_cbranch_execz .LBB17_1813
	s_branch .LBB17_1814
.LBB17_2062:
	s_andn2_saveexec_b64 s[12:13], s[12:13]
	s_cbranch_execz .LBB17_1778
.LBB17_2063:
	s_mov_b32 s16, 0x42800000
	v_add_f32_e64 v3, |v2|, s16
	v_and_b32_e32 v3, 0xff, v3
	v_cmp_ne_u32_e32 vcc, 0, v3
	s_andn2_b64 s[10:11], s[10:11], exec
	s_and_b64 s[16:17], vcc, exec
	s_or_b64 s[10:11], s[10:11], s[16:17]
	s_or_b64 exec, exec, s[12:13]
	v_mov_b32_e32 v7, 0
	s_and_saveexec_b64 s[12:13], s[10:11]
	s_cbranch_execnz .LBB17_1779
	s_branch .LBB17_1780
.LBB17_2064:
	s_andn2_saveexec_b64 s[16:17], s[16:17]
	s_cbranch_execz .LBB17_1884
.LBB17_2065:
	s_mov_b32 s21, 0x46000000
	v_add_f32_e64 v3, |v4|, s21
	v_and_b32_e32 v3, 0xff, v3
	v_cmp_ne_u32_e32 vcc, 0, v3
	s_andn2_b64 s[12:13], s[12:13], exec
	s_and_b64 s[22:23], vcc, exec
	s_or_b64 s[12:13], s[12:13], s[22:23]
	s_or_b64 exec, exec, s[16:17]
	v_mov_b32_e32 v5, 0
	s_and_saveexec_b64 s[16:17], s[12:13]
	s_cbranch_execnz .LBB17_1885
	s_branch .LBB17_1886
.LBB17_2066:
	s_trap 2
	s_or_b64 s[14:15], s[14:15], exec
	s_cbranch_execz .LBB17_1932
	s_branch .LBB17_1933
.LBB17_2067:
	s_andn2_saveexec_b64 s[12:13], s[12:13]
	s_cbranch_execz .LBB17_1897
.LBB17_2068:
	s_mov_b32 s16, 0x42800000
	v_add_f32_e64 v3, |v4|, s16
	v_and_b32_e32 v3, 0xff, v3
	v_cmp_ne_u32_e32 vcc, 0, v3
	s_andn2_b64 s[10:11], s[10:11], exec
	s_and_b64 s[16:17], vcc, exec
	s_or_b64 s[10:11], s[10:11], s[16:17]
	s_or_b64 exec, exec, s[12:13]
	v_mov_b32_e32 v5, 0
	s_and_saveexec_b64 s[12:13], s[10:11]
	s_cbranch_execnz .LBB17_1898
	s_branch .LBB17_1899
.LBB17_2069:
	s_andn2_saveexec_b64 s[12:13], s[12:13]
	s_cbranch_execz .LBB17_2004
.LBB17_2070:
	s_mov_b32 s17, 0x46000000
	v_add_f32_e64 v2, |v6|, s17
	v_and_b32_e32 v2, 0xff, v2
	v_cmp_ne_u32_e32 vcc, 0, v2
	s_andn2_b64 s[10:11], s[10:11], exec
	s_and_b64 s[18:19], vcc, exec
	s_or_b64 s[10:11], s[10:11], s[18:19]
	s_or_b64 exec, exec, s[12:13]
	v_mov_b32_e32 v3, 0
	s_and_saveexec_b64 s[12:13], s[10:11]
	s_cbranch_execnz .LBB17_2005
	s_branch .LBB17_2006
.LBB17_2071:
	s_mov_b64 s[2:3], 0
	s_or_b64 s[14:15], s[14:15], exec
	s_trap 2
	s_branch .LBB17_2050
.LBB17_2072:
	s_andn2_saveexec_b64 s[10:11], s[10:11]
	s_cbranch_execz .LBB17_2016
.LBB17_2073:
	s_mov_b32 s12, 0x42800000
	v_add_f32_e64 v2, |v6|, s12
	v_and_b32_e32 v2, 0xff, v2
	v_cmp_ne_u32_e32 vcc, 0, v2
	s_andn2_b64 s[8:9], s[8:9], exec
	s_and_b64 s[12:13], vcc, exec
	s_or_b64 s[8:9], s[8:9], s[12:13]
	s_or_b64 exec, exec, s[10:11]
	v_mov_b32_e32 v3, 0
	s_and_saveexec_b64 s[10:11], s[8:9]
	s_cbranch_execnz .LBB17_2017
	s_branch .LBB17_2018
	.section	.rodata,"a",@progbits
	.p2align	6, 0x0
	.amdhsa_kernel _ZN2at6native32elementwise_kernel_manual_unrollILi128ELi4EZNS0_15gpu_kernel_implIZZZNS0_12_GLOBAL__N_130modified_bessel_i0_kernel_cudaERNS_18TensorIteratorBaseEENKUlvE_clEvENKUlvE0_clEvEUlfE_EEvS5_RKT_EUlibE_EEviT1_
		.amdhsa_group_segment_fixed_size 0
		.amdhsa_private_segment_fixed_size 0
		.amdhsa_kernarg_size 40
		.amdhsa_user_sgpr_count 6
		.amdhsa_user_sgpr_private_segment_buffer 1
		.amdhsa_user_sgpr_dispatch_ptr 0
		.amdhsa_user_sgpr_queue_ptr 0
		.amdhsa_user_sgpr_kernarg_segment_ptr 1
		.amdhsa_user_sgpr_dispatch_id 0
		.amdhsa_user_sgpr_flat_scratch_init 0
		.amdhsa_user_sgpr_private_segment_size 0
		.amdhsa_uses_dynamic_stack 0
		.amdhsa_system_sgpr_private_segment_wavefront_offset 0
		.amdhsa_system_sgpr_workgroup_id_x 1
		.amdhsa_system_sgpr_workgroup_id_y 0
		.amdhsa_system_sgpr_workgroup_id_z 0
		.amdhsa_system_sgpr_workgroup_info 0
		.amdhsa_system_vgpr_workitem_id 0
		.amdhsa_next_free_vgpr 16
		.amdhsa_next_free_sgpr 44
		.amdhsa_reserve_vcc 1
		.amdhsa_reserve_flat_scratch 0
		.amdhsa_float_round_mode_32 0
		.amdhsa_float_round_mode_16_64 0
		.amdhsa_float_denorm_mode_32 3
		.amdhsa_float_denorm_mode_16_64 3
		.amdhsa_dx10_clamp 1
		.amdhsa_ieee_mode 1
		.amdhsa_fp16_overflow 0
		.amdhsa_exception_fp_ieee_invalid_op 0
		.amdhsa_exception_fp_denorm_src 0
		.amdhsa_exception_fp_ieee_div_zero 0
		.amdhsa_exception_fp_ieee_overflow 0
		.amdhsa_exception_fp_ieee_underflow 0
		.amdhsa_exception_fp_ieee_inexact 0
		.amdhsa_exception_int_div_zero 0
	.end_amdhsa_kernel
	.section	.text._ZN2at6native32elementwise_kernel_manual_unrollILi128ELi4EZNS0_15gpu_kernel_implIZZZNS0_12_GLOBAL__N_130modified_bessel_i0_kernel_cudaERNS_18TensorIteratorBaseEENKUlvE_clEvENKUlvE0_clEvEUlfE_EEvS5_RKT_EUlibE_EEviT1_,"axG",@progbits,_ZN2at6native32elementwise_kernel_manual_unrollILi128ELi4EZNS0_15gpu_kernel_implIZZZNS0_12_GLOBAL__N_130modified_bessel_i0_kernel_cudaERNS_18TensorIteratorBaseEENKUlvE_clEvENKUlvE0_clEvEUlfE_EEvS5_RKT_EUlibE_EEviT1_,comdat
.Lfunc_end17:
	.size	_ZN2at6native32elementwise_kernel_manual_unrollILi128ELi4EZNS0_15gpu_kernel_implIZZZNS0_12_GLOBAL__N_130modified_bessel_i0_kernel_cudaERNS_18TensorIteratorBaseEENKUlvE_clEvENKUlvE0_clEvEUlfE_EEvS5_RKT_EUlibE_EEviT1_, .Lfunc_end17-_ZN2at6native32elementwise_kernel_manual_unrollILi128ELi4EZNS0_15gpu_kernel_implIZZZNS0_12_GLOBAL__N_130modified_bessel_i0_kernel_cudaERNS_18TensorIteratorBaseEENKUlvE_clEvENKUlvE0_clEvEUlfE_EEvS5_RKT_EUlibE_EEviT1_
                                        ; -- End function
	.set _ZN2at6native32elementwise_kernel_manual_unrollILi128ELi4EZNS0_15gpu_kernel_implIZZZNS0_12_GLOBAL__N_130modified_bessel_i0_kernel_cudaERNS_18TensorIteratorBaseEENKUlvE_clEvENKUlvE0_clEvEUlfE_EEvS5_RKT_EUlibE_EEviT1_.num_vgpr, 16
	.set _ZN2at6native32elementwise_kernel_manual_unrollILi128ELi4EZNS0_15gpu_kernel_implIZZZNS0_12_GLOBAL__N_130modified_bessel_i0_kernel_cudaERNS_18TensorIteratorBaseEENKUlvE_clEvENKUlvE0_clEvEUlfE_EEvS5_RKT_EUlibE_EEviT1_.num_agpr, 0
	.set _ZN2at6native32elementwise_kernel_manual_unrollILi128ELi4EZNS0_15gpu_kernel_implIZZZNS0_12_GLOBAL__N_130modified_bessel_i0_kernel_cudaERNS_18TensorIteratorBaseEENKUlvE_clEvENKUlvE0_clEvEUlfE_EEvS5_RKT_EUlibE_EEviT1_.numbered_sgpr, 44
	.set _ZN2at6native32elementwise_kernel_manual_unrollILi128ELi4EZNS0_15gpu_kernel_implIZZZNS0_12_GLOBAL__N_130modified_bessel_i0_kernel_cudaERNS_18TensorIteratorBaseEENKUlvE_clEvENKUlvE0_clEvEUlfE_EEvS5_RKT_EUlibE_EEviT1_.num_named_barrier, 0
	.set _ZN2at6native32elementwise_kernel_manual_unrollILi128ELi4EZNS0_15gpu_kernel_implIZZZNS0_12_GLOBAL__N_130modified_bessel_i0_kernel_cudaERNS_18TensorIteratorBaseEENKUlvE_clEvENKUlvE0_clEvEUlfE_EEvS5_RKT_EUlibE_EEviT1_.private_seg_size, 0
	.set _ZN2at6native32elementwise_kernel_manual_unrollILi128ELi4EZNS0_15gpu_kernel_implIZZZNS0_12_GLOBAL__N_130modified_bessel_i0_kernel_cudaERNS_18TensorIteratorBaseEENKUlvE_clEvENKUlvE0_clEvEUlfE_EEvS5_RKT_EUlibE_EEviT1_.uses_vcc, 1
	.set _ZN2at6native32elementwise_kernel_manual_unrollILi128ELi4EZNS0_15gpu_kernel_implIZZZNS0_12_GLOBAL__N_130modified_bessel_i0_kernel_cudaERNS_18TensorIteratorBaseEENKUlvE_clEvENKUlvE0_clEvEUlfE_EEvS5_RKT_EUlibE_EEviT1_.uses_flat_scratch, 0
	.set _ZN2at6native32elementwise_kernel_manual_unrollILi128ELi4EZNS0_15gpu_kernel_implIZZZNS0_12_GLOBAL__N_130modified_bessel_i0_kernel_cudaERNS_18TensorIteratorBaseEENKUlvE_clEvENKUlvE0_clEvEUlfE_EEvS5_RKT_EUlibE_EEviT1_.has_dyn_sized_stack, 0
	.set _ZN2at6native32elementwise_kernel_manual_unrollILi128ELi4EZNS0_15gpu_kernel_implIZZZNS0_12_GLOBAL__N_130modified_bessel_i0_kernel_cudaERNS_18TensorIteratorBaseEENKUlvE_clEvENKUlvE0_clEvEUlfE_EEvS5_RKT_EUlibE_EEviT1_.has_recursion, 0
	.set _ZN2at6native32elementwise_kernel_manual_unrollILi128ELi4EZNS0_15gpu_kernel_implIZZZNS0_12_GLOBAL__N_130modified_bessel_i0_kernel_cudaERNS_18TensorIteratorBaseEENKUlvE_clEvENKUlvE0_clEvEUlfE_EEvS5_RKT_EUlibE_EEviT1_.has_indirect_call, 0
	.section	.AMDGPU.csdata,"",@progbits
; Kernel info:
; codeLenInByte = 43888
; TotalNumSgprs: 48
; NumVgprs: 16
; ScratchSize: 0
; MemoryBound: 1
; FloatMode: 240
; IeeeMode: 1
; LDSByteSize: 0 bytes/workgroup (compile time only)
; SGPRBlocks: 5
; VGPRBlocks: 3
; NumSGPRsForWavesPerEU: 48
; NumVGPRsForWavesPerEU: 16
; Occupancy: 10
; WaveLimiterHint : 0
; COMPUTE_PGM_RSRC2:SCRATCH_EN: 0
; COMPUTE_PGM_RSRC2:USER_SGPR: 6
; COMPUTE_PGM_RSRC2:TRAP_HANDLER: 0
; COMPUTE_PGM_RSRC2:TGID_X_EN: 1
; COMPUTE_PGM_RSRC2:TGID_Y_EN: 0
; COMPUTE_PGM_RSRC2:TGID_Z_EN: 0
; COMPUTE_PGM_RSRC2:TIDIG_COMP_CNT: 0
	.section	.text._ZN2at6native32elementwise_kernel_manual_unrollILi128ELi4EZNS0_15gpu_kernel_implIZZZNS0_12_GLOBAL__N_130modified_bessel_i0_kernel_cudaERNS_18TensorIteratorBaseEENKUlvE_clEvENKUlvE0_clEvEUlfE_EEvS5_RKT_EUlibE0_EEviT1_,"axG",@progbits,_ZN2at6native32elementwise_kernel_manual_unrollILi128ELi4EZNS0_15gpu_kernel_implIZZZNS0_12_GLOBAL__N_130modified_bessel_i0_kernel_cudaERNS_18TensorIteratorBaseEENKUlvE_clEvENKUlvE0_clEvEUlfE_EEvS5_RKT_EUlibE0_EEviT1_,comdat
	.globl	_ZN2at6native32elementwise_kernel_manual_unrollILi128ELi4EZNS0_15gpu_kernel_implIZZZNS0_12_GLOBAL__N_130modified_bessel_i0_kernel_cudaERNS_18TensorIteratorBaseEENKUlvE_clEvENKUlvE0_clEvEUlfE_EEvS5_RKT_EUlibE0_EEviT1_ ; -- Begin function _ZN2at6native32elementwise_kernel_manual_unrollILi128ELi4EZNS0_15gpu_kernel_implIZZZNS0_12_GLOBAL__N_130modified_bessel_i0_kernel_cudaERNS_18TensorIteratorBaseEENKUlvE_clEvENKUlvE0_clEvEUlfE_EEvS5_RKT_EUlibE0_EEviT1_
	.p2align	8
	.type	_ZN2at6native32elementwise_kernel_manual_unrollILi128ELi4EZNS0_15gpu_kernel_implIZZZNS0_12_GLOBAL__N_130modified_bessel_i0_kernel_cudaERNS_18TensorIteratorBaseEENKUlvE_clEvENKUlvE0_clEvEUlfE_EEvS5_RKT_EUlibE0_EEviT1_,@function
_ZN2at6native32elementwise_kernel_manual_unrollILi128ELi4EZNS0_15gpu_kernel_implIZZZNS0_12_GLOBAL__N_130modified_bessel_i0_kernel_cudaERNS_18TensorIteratorBaseEENKUlvE_clEvENKUlvE0_clEvEUlfE_EEvS5_RKT_EUlibE0_EEviT1_: ; @_ZN2at6native32elementwise_kernel_manual_unrollILi128ELi4EZNS0_15gpu_kernel_implIZZZNS0_12_GLOBAL__N_130modified_bessel_i0_kernel_cudaERNS_18TensorIteratorBaseEENKUlvE_clEvENKUlvE0_clEvEUlfE_EEvS5_RKT_EUlibE0_EEviT1_
; %bb.0:
	s_load_dword s70, s[4:5], 0x0
	s_load_dword s33, s[4:5], 0x8
	s_add_u32 s34, s4, 8
	s_addc_u32 s35, s5, 0
	v_lshl_or_b32 v8, s6, 9, v0
	v_or_b32_e32 v15, 0x180, v8
	s_waitcnt lgkmcnt(0)
	s_add_i32 s72, s33, -1
	s_cmp_gt_u32 s72, 1
	v_cmp_le_i32_e32 vcc, s70, v15
	s_cselect_b64 s[40:41], -1, 0
	s_mov_b64 s[6:7], 0
	s_mov_b64 s[28:29], 0
	s_and_saveexec_b64 s[0:1], vcc
	s_xor_b64 s[42:43], exec, s[0:1]
	s_cbranch_execz .LBB18_1102
; %bb.1:
	v_mov_b32_e32 v0, 0
	global_load_ushort v0, v0, s[34:35] offset:345
	s_load_dwordx4 s[36:39], s[34:35], 0x4
	s_load_dwordx2 s[44:45], s[34:35], 0x14
	s_load_dwordx4 s[28:31], s[34:35], 0xc4
	s_load_dwordx4 s[24:27], s[34:35], 0x148
	s_cmp_lg_u32 s33, 0
	s_cselect_b64 s[50:51], -1, 0
	s_add_u32 s48, s34, 0xc4
	s_addc_u32 s49, s35, 0
	s_min_u32 s75, s72, 15
	s_cmp_gt_u32 s33, 1
	s_cselect_b64 s[46:47], -1, 0
	v_cmp_gt_i32_e32 vcc, s70, v8
	s_mov_b64 s[2:3], -1
	s_mov_b64 s[60:61], 0
	s_mov_b64 s[54:55], 0
	;; [unrolled: 1-line block ×3, first 2 shown]
	s_waitcnt vmcnt(0)
	v_readfirstlane_b32 s73, v0
	s_and_b32 s0, 0xffff, s73
	s_lshr_b32 s74, s0, 8
	s_and_saveexec_b64 s[56:57], vcc
	s_cbranch_execz .LBB18_270
; %bb.2:
	s_andn2_b64 vcc, exec, s[40:41]
	s_cbranch_vccnz .LBB18_7
; %bb.3:
	s_andn2_b64 vcc, exec, s[50:51]
	s_cbranch_vccnz .LBB18_8
; %bb.4:
	s_add_i32 s59, s75, 1
	s_cmp_eq_u32 s72, 2
	s_cbranch_scc1 .LBB18_9
; %bb.5:
	s_and_b32 s58, s59, 28
	v_mov_b32_e32 v2, 0
	s_mov_b32 s62, 0
	s_mov_b64 s[52:53], s[34:35]
	s_mov_b64 s[54:55], s[48:49]
	v_mov_b32_e32 v0, 0
	v_mov_b32_e32 v1, v8
.LBB18_6:                               ; =>This Inner Loop Header: Depth=1
	s_load_dwordx8 s[16:23], s[52:53], 0x4
	s_load_dwordx4 s[0:3], s[52:53], 0x24
	s_load_dwordx8 s[8:15], s[54:55], 0x0
	s_add_u32 s52, s52, 48
	s_addc_u32 s53, s53, 0
	s_waitcnt lgkmcnt(0)
	v_mul_hi_u32 v3, s17, v1
	s_add_i32 s62, s62, 4
	s_add_u32 s54, s54, 32
	s_addc_u32 s55, s55, 0
	v_add_u32_e32 v3, v1, v3
	v_lshrrev_b32_e32 v3, s18, v3
	v_mul_lo_u32 v4, v3, s16
	v_mul_hi_u32 v5, s20, v3
	s_cmp_lg_u32 s58, s62
	v_sub_u32_e32 v1, v1, v4
	v_add_u32_e32 v4, v3, v5
	v_mul_lo_u32 v5, v1, s8
	v_mul_lo_u32 v6, v1, s9
	v_lshrrev_b32_e32 v1, s21, v4
	v_mul_lo_u32 v4, v1, s19
	v_mul_hi_u32 v7, s23, v1
	v_sub_u32_e32 v3, v3, v4
	v_add_u32_e32 v4, v1, v7
	v_lshrrev_b32_e32 v4, s0, v4
	v_mul_hi_u32 v9, s2, v4
	v_mul_lo_u32 v10, v4, s22
	v_mul_lo_u32 v7, v3, s10
	;; [unrolled: 1-line block ×3, first 2 shown]
	v_sub_u32_e32 v10, v1, v10
	v_add_u32_e32 v1, v4, v9
	v_lshrrev_b32_e32 v1, s3, v1
	v_mul_lo_u32 v9, v1, s1
	v_mul_lo_u32 v11, v10, s12
	;; [unrolled: 1-line block ×3, first 2 shown]
	v_add3_u32 v0, v5, v0, v7
	v_sub_u32_e32 v4, v4, v9
	v_mul_lo_u32 v9, v4, s14
	v_mul_lo_u32 v4, v4, s15
	v_add3_u32 v2, v6, v2, v3
	v_add3_u32 v0, v11, v0, v9
	;; [unrolled: 1-line block ×3, first 2 shown]
	s_cbranch_scc1 .LBB18_6
	s_branch .LBB18_10
.LBB18_7:
                                        ; implicit-def: $vgpr0
                                        ; implicit-def: $vgpr2
	s_branch .LBB18_14
.LBB18_8:
	v_mov_b32_e32 v0, 0
	v_mov_b32_e32 v2, 0
	s_branch .LBB18_13
.LBB18_9:
	s_mov_b32 s58, 0
	v_mov_b32_e32 v0, 0
	v_mov_b32_e32 v2, 0
	;; [unrolled: 1-line block ×3, first 2 shown]
.LBB18_10:
	s_and_b32 s8, s59, 3
	s_cmp_eq_u32 s8, 0
	s_cbranch_scc1 .LBB18_13
; %bb.11:
	s_lshl_b32 s0, s58, 3
	s_add_u32 s0, s34, s0
	s_addc_u32 s1, s35, 0
	s_add_u32 s0, s0, 0xc4
	s_addc_u32 s1, s1, 0
	s_mul_i32 s2, s58, 12
	s_add_u32 s2, s34, s2
	s_addc_u32 s3, s35, 0
.LBB18_12:                              ; =>This Inner Loop Header: Depth=1
	s_load_dwordx2 s[10:11], s[2:3], 0x4
	s_load_dword s9, s[2:3], 0xc
	s_load_dwordx2 s[12:13], s[0:1], 0x0
	s_add_u32 s2, s2, 12
	s_addc_u32 s3, s3, 0
	s_waitcnt lgkmcnt(0)
	v_mul_hi_u32 v3, s11, v1
	s_add_u32 s0, s0, 8
	s_addc_u32 s1, s1, 0
	s_add_i32 s8, s8, -1
	v_add_u32_e32 v3, v1, v3
	v_lshrrev_b32_e32 v4, s9, v3
	v_mul_lo_u32 v3, v4, s10
	s_cmp_lg_u32 s8, 0
	v_sub_u32_e32 v3, v1, v3
	v_mad_u64_u32 v[0:1], s[10:11], v3, s12, v[0:1]
	v_mad_u64_u32 v[2:3], s[10:11], v3, s13, v[2:3]
	v_mov_b32_e32 v1, v4
	s_cbranch_scc1 .LBB18_12
.LBB18_13:
	s_cbranch_execnz .LBB18_16
.LBB18_14:
	s_waitcnt lgkmcnt(0)
	v_mul_hi_u32 v0, s37, v8
	s_andn2_b64 vcc, exec, s[46:47]
	v_add_u32_e32 v0, v8, v0
	v_lshrrev_b32_e32 v1, s38, v0
	v_mul_lo_u32 v0, v1, s36
	v_sub_u32_e32 v2, v8, v0
	v_mul_lo_u32 v0, v2, s28
	v_mul_lo_u32 v2, v2, s29
	s_cbranch_vccnz .LBB18_16
; %bb.15:
	v_mul_hi_u32 v3, s44, v1
	v_add_u32_e32 v3, v1, v3
	v_lshrrev_b32_e32 v3, s45, v3
	v_mul_lo_u32 v3, v3, s39
	v_sub_u32_e32 v3, v1, v3
	v_mad_u64_u32 v[0:1], s[0:1], v3, s30, v[0:1]
	v_mad_u64_u32 v[2:3], s[0:1], v3, s31, v[2:3]
.LBB18_16:
	s_waitcnt lgkmcnt(0)
	v_mov_b32_e32 v3, s27
	s_and_b32 s12, 0xffff, s74
	v_add_co_u32_e32 v1, vcc, s26, v2
	s_cmp_lt_i32 s12, 11
	v_addc_co_u32_e32 v2, vcc, 0, v3, vcc
	s_cbranch_scc1 .LBB18_23
; %bb.17:
	s_cmp_gt_i32 s12, 25
	s_cbranch_scc0 .LBB18_36
; %bb.18:
	s_cmp_gt_i32 s12, 28
	s_cbranch_scc0 .LBB18_39
	;; [unrolled: 3-line block ×4, first 2 shown]
; %bb.21:
	s_cmp_eq_u32 s12, 46
	s_mov_b64 s[8:9], 0
	s_cbranch_scc0 .LBB18_45
; %bb.22:
	global_load_dword v3, v[1:2], off
	s_mov_b64 s[0:1], -1
	s_mov_b64 s[2:3], 0
	s_waitcnt vmcnt(0)
	v_lshlrev_b32_e32 v3, 16, v3
	s_branch .LBB18_47
.LBB18_23:
	s_mov_b64 s[2:3], 0
                                        ; implicit-def: $vgpr3
	s_mov_b64 s[0:1], 0
	s_cbranch_execnz .LBB18_220
.LBB18_24:
	s_andn2_b64 vcc, exec, s[0:1]
	s_cbranch_vccnz .LBB18_267
.LBB18_25:
	s_mov_b32 s0, 0x41000000
	s_waitcnt vmcnt(0)
	v_cmp_le_f32_e64 s[0:1], |v3|, s0
                                        ; implicit-def: $vgpr1
	s_and_saveexec_b64 s[8:9], s[0:1]
	s_xor_b64 s[0:1], exec, s[8:9]
	s_cbranch_execz .LBB18_27
; %bb.26:
	v_fma_f32 v1, |v3|, 0.5, -2.0
	v_mov_b32_e32 v2, 0x24199b15
	v_fmac_f32_e32 v2, 0xa2a2e5b9, v1
	v_mov_b32_e32 v4, 0x22a2e5b9
	v_fmac_f32_e32 v4, v1, v2
	v_add_f32_e32 v4, 0xa58c275c, v4
	v_fma_f32 v2, v1, v4, -v2
	v_add_f32_e32 v2, 0x26f736c5, v2
	v_fma_f32 v4, v1, v2, -v4
	;; [unrolled: 2-line block ×22, first 2 shown]
	v_add_f32_e32 v4, 0xbcc274f8, v4
	s_mov_b32 s8, 0x3fb8aa3b
	v_fma_f32 v2, v1, v4, -v2
	v_mul_f32_e64 v5, |v3|, s8
	v_add_f32_e32 v2, 0x3d49f456, v2
	v_rndne_f32_e32 v6, v5
	v_fma_f32 v4, v1, v2, -v4
	v_sub_f32_e32 v7, v5, v6
	v_fma_f32 v5, |v3|, s8, -v5
	s_mov_b32 s8, 0x32a5705f
	v_add_f32_e32 v4, 0xbdc25b82, v4
	v_fma_f32 v5, |v3|, s8, v5
	v_fma_f32 v2, v1, v4, -v2
	v_add_f32_e32 v5, v7, v5
	v_add_f32_e32 v2, 0x3e2fbd64, v2
	v_exp_f32_e32 v5, v5
	v_cvt_i32_f32_e32 v6, v6
	v_fma_f32 v4, v1, v2, -v4
	v_add_f32_e32 v4, 0xbe9bff5e, v4
	v_fma_f32 v1, v1, v4, -v2
	s_mov_b32 s8, 0xc2ce8ed0
	v_add_f32_e32 v1, 0x3f2d4275, v1
	v_ldexp_f32 v4, v5, v6
	v_cmp_nlt_f32_e64 vcc, |v3|, s8
	s_mov_b32 s8, 0x42b17218
	v_cndmask_b32_e32 v4, 0, v4, vcc
	v_mov_b32_e32 v5, 0x7f800000
	v_cmp_ngt_f32_e64 vcc, |v3|, s8
	v_sub_f32_e32 v1, v1, v2
	v_cndmask_b32_e32 v3, v5, v4, vcc
	v_mul_f32_e32 v1, 0.5, v1
	v_mul_f32_e32 v1, v3, v1
                                        ; implicit-def: $vgpr3
.LBB18_27:
	s_andn2_saveexec_b64 s[8:9], s[0:1]
	s_cbranch_execz .LBB18_29
; %bb.28:
	v_and_b32_e32 v1, 0x7fffffff, v3
	s_mov_b32 s10, 0x42000000
	v_div_scale_f32 v2, s[0:1], v1, v1, s10
	v_div_scale_f32 v1, vcc, s10, v1, s10
	s_mov_b32 s0, 0x3fb8aa3b
	v_mul_f32_e64 v6, |v3|, s0
	s_mov_b32 s1, 0x32a5705f
	v_rndne_f32_e32 v10, v6
	v_fma_f32 v11, |v3|, s0, -v6
	s_mov_b32 s13, 0xf800000
	s_mov_b32 s14, 0x4f800000
	v_sub_f32_e32 v6, v6, v10
	v_mul_f32_e64 v9, |v3|, s14
	v_mov_b32_e32 v4, 0xa2b236d3
	v_mov_b32_e32 v5, 0x23056dbb
	s_mov_b32 s11, 0xc2ce8ed0
	v_rcp_f32_e32 v7, v2
	s_mov_b32 s12, 0x42b17218
	v_fma_f32 v12, -v2, v7, 1.0
	v_fmac_f32_e32 v7, v12, v7
	v_mul_f32_e32 v12, v1, v7
	v_fma_f32 v13, -v2, v12, v1
	v_fmac_f32_e32 v12, v13, v7
	v_fma_f32 v1, -v2, v12, v1
	v_div_fmas_f32 v1, v1, v7, v12
	v_fma_f32 v7, |v3|, s1, v11
	v_cmp_lt_f32_e64 vcc, |v3|, s13
	v_add_f32_e32 v6, v6, v7
	v_cndmask_b32_e64 v2, |v3|, v9, vcc
	v_cvt_i32_f32_e32 v9, v10
	v_exp_f32_e32 v6, v6
	v_cmp_nlt_f32_e64 s[0:1], |v3|, s11
	v_sqrt_f32_e32 v10, v2
	v_mov_b32_e32 v7, 0x7f800000
	v_ldexp_f32 v6, v6, v9
	v_cndmask_b32_e64 v6, 0, v6, s[0:1]
	v_cmp_ngt_f32_e64 s[0:1], |v3|, s12
	v_add_u32_e32 v11, -1, v10
	v_fma_f32 v12, -v11, v10, v2
	v_cndmask_b32_e64 v6, v7, v6, s[0:1]
	v_div_fixup_f32 v1, v1, |v3|, s10
	v_add_f32_e32 v1, -2.0, v1
	v_fmac_f32_e32 v4, 0xa3056dbb, v1
	v_fmac_f32_e32 v5, v1, v4
	v_add_f32_e32 v3, 0x244df0c1, v5
	v_fma_f32 v4, v1, v3, -v4
	v_add_f32_e32 v4, 0x241f9ee8, v4
	v_fma_f32 v3, v1, v4, -v3
	;; [unrolled: 2-line block ×22, first 2 shown]
	v_add_u32_e32 v4, 1, v10
	v_add_f32_e32 v1, 0x3f4df315, v1
	v_cmp_ge_f32_e64 s[0:1], 0, v12
	v_fma_f32 v5, -v4, v10, v2
	v_sub_f32_e32 v1, v1, v3
	v_cndmask_b32_e64 v3, v10, v11, s[0:1]
	v_cmp_lt_f32_e64 s[0:1], 0, v5
	v_cndmask_b32_e64 v3, v3, v4, s[0:1]
	v_mul_f32_e32 v4, 0x37800000, v3
	v_cndmask_b32_e32 v3, v3, v4, vcc
	v_mov_b32_e32 v4, 0x260
	v_mul_f32_e32 v1, 0.5, v1
	v_cmp_class_f32_e32 vcc, v2, v4
	v_mul_f32_e32 v1, v6, v1
	v_cndmask_b32_e32 v2, v3, v2, vcc
	v_div_scale_f32 v3, s[0:1], v2, v2, v1
	v_div_scale_f32 v4, vcc, v1, v2, v1
	v_rcp_f32_e32 v5, v3
	v_fma_f32 v6, -v3, v5, 1.0
	v_fmac_f32_e32 v5, v6, v5
	v_mul_f32_e32 v6, v4, v5
	v_fma_f32 v7, -v3, v6, v4
	v_fmac_f32_e32 v6, v7, v5
	v_fma_f32 v3, -v3, v6, v4
	v_div_fmas_f32 v3, v3, v5, v6
	v_div_fixup_f32 v1, v3, v2, v1
.LBB18_29:
	s_or_b64 exec, exec, s[8:9]
	v_mov_b32_e32 v2, s25
	s_and_b32 s14, s73, 0xff
	v_add_co_u32_e32 v3, vcc, s24, v0
	s_cmp_lt_i32 s14, 11
	v_addc_co_u32_e32 v4, vcc, 0, v2, vcc
	s_cbranch_scc1 .LBB18_37
; %bb.30:
	s_and_b32 s15, 0xffff, s14
	s_cmp_gt_i32 s15, 25
	s_cbranch_scc0 .LBB18_40
; %bb.31:
	s_cmp_gt_i32 s15, 28
	s_cbranch_scc0 .LBB18_42
; %bb.32:
	;; [unrolled: 3-line block ×4, first 2 shown]
	s_mov_b64 s[10:11], 0
	s_mov_b64 s[0:1], -1
	s_cmp_eq_u32 s15, 46
	s_mov_b64 s[8:9], 0
	s_cbranch_scc0 .LBB18_51
; %bb.35:
	v_bfe_u32 v0, v1, 16, 1
	s_movk_i32 s0, 0x7fff
	v_add3_u32 v0, v1, v0, s0
	v_cmp_o_f32_e32 vcc, v1, v1
	v_mov_b32_e32 v2, 0x7fc0
	v_cndmask_b32_sdwa v0, v2, v0, vcc dst_sel:DWORD dst_unused:UNUSED_PAD src0_sel:DWORD src1_sel:WORD_1
	global_store_dword v[3:4], v0, off
	s_mov_b64 s[8:9], -1
	s_mov_b64 s[0:1], 0
	s_branch .LBB18_51
.LBB18_36:
	s_mov_b64 s[2:3], 0
	s_mov_b64 s[0:1], 0
                                        ; implicit-def: $vgpr3
	s_cbranch_execnz .LBB18_185
	s_branch .LBB18_219
.LBB18_37:
	s_mov_b64 s[0:1], 0
	s_mov_b64 s[8:9], 0
	s_cbranch_execnz .LBB18_120
.LBB18_38:
	s_andn2_b64 vcc, exec, s[8:9]
	s_cbranch_vccnz .LBB18_268
	s_branch .LBB18_158
.LBB18_39:
	s_mov_b64 s[8:9], -1
	s_mov_b64 s[2:3], 0
	s_mov_b64 s[0:1], 0
                                        ; implicit-def: $vgpr3
	s_branch .LBB18_166
.LBB18_40:
	s_mov_b64 s[10:11], -1
	s_mov_b64 s[0:1], 0
	s_mov_b64 s[8:9], 0
	s_branch .LBB18_78
.LBB18_41:
	s_mov_b64 s[8:9], -1
	s_mov_b64 s[2:3], 0
	s_mov_b64 s[0:1], 0
                                        ; implicit-def: $vgpr3
	s_branch .LBB18_161
.LBB18_42:
	s_mov_b64 s[10:11], -1
	s_mov_b64 s[0:1], 0
	s_mov_b64 s[8:9], 0
	s_branch .LBB18_61
.LBB18_43:
	s_mov_b64 s[8:9], -1
	s_mov_b64 s[2:3], 0
	s_branch .LBB18_46
.LBB18_44:
	s_mov_b64 s[10:11], -1
	s_mov_b64 s[0:1], 0
	s_mov_b64 s[8:9], 0
	s_branch .LBB18_57
.LBB18_45:
	s_mov_b64 s[2:3], -1
.LBB18_46:
	s_mov_b64 s[0:1], 0
                                        ; implicit-def: $vgpr3
.LBB18_47:
	s_and_b64 vcc, exec, s[8:9]
	s_cbranch_vccz .LBB18_160
; %bb.48:
	s_cmp_eq_u32 s12, 44
	s_cbranch_scc0 .LBB18_159
; %bb.49:
	global_load_ubyte v3, v[1:2], off
	s_movk_i32 s2, 0xff
	v_mov_b32_e32 v4, 0x7f800001
	v_mov_b32_e32 v5, 0x400000
	s_mov_b64 s[0:1], -1
	s_waitcnt vmcnt(0)
	v_lshlrev_b32_e32 v6, 23, v3
	v_cmp_ne_u32_e32 vcc, s2, v3
	v_cndmask_b32_e32 v4, v4, v6, vcc
	v_cmp_ne_u32_e32 vcc, 0, v3
	v_cndmask_b32_e32 v3, v5, v4, vcc
	s_mov_b64 s[2:3], 0
	s_branch .LBB18_160
.LBB18_50:
	s_mov_b64 s[10:11], -1
	s_mov_b64 s[0:1], 0
	s_mov_b64 s[8:9], 0
.LBB18_51:
	s_and_b64 vcc, exec, s[10:11]
	s_cbranch_vccz .LBB18_56
; %bb.52:
	s_cmp_eq_u32 s15, 44
	s_mov_b64 s[0:1], -1
	s_cbranch_scc0 .LBB18_56
; %bb.53:
	v_bfe_u32 v0, v1, 23, 8
	s_movk_i32 s0, 0xff
	v_cmp_ne_u32_e32 vcc, s0, v0
	v_mov_b32_e32 v2, 0xff
	s_and_saveexec_b64 s[8:9], vcc
; %bb.54:
	s_mov_b32 s0, 0x3fffff
	v_and_b32_e32 v5, 0x400000, v1
	v_and_or_b32 v0, v1, s0, v0
	v_cmp_ne_u32_e32 vcc, 0, v5
	v_cmp_ne_u32_e64 s[0:1], 0, v0
	s_and_b64 s[0:1], vcc, s[0:1]
	v_lshrrev_b32_e32 v2, 23, v1
	v_cndmask_b32_e64 v0, 0, 1, s[0:1]
	v_add_u32_e32 v2, v2, v0
; %bb.55:
	s_or_b64 exec, exec, s[8:9]
	s_mov_b64 s[8:9], -1
	s_mov_b64 s[0:1], 0
	global_store_byte v[3:4], v2, off
.LBB18_56:
	s_mov_b64 s[10:11], 0
.LBB18_57:
	s_and_b64 vcc, exec, s[10:11]
	s_cbranch_vccz .LBB18_60
; %bb.58:
	s_cmp_eq_u32 s15, 29
	s_mov_b64 s[0:1], -1
	s_cbranch_scc0 .LBB18_60
; %bb.59:
	v_trunc_f32_e32 v0, v1
	v_mul_f32_e32 v2, 0x2f800000, v0
	v_floor_f32_e32 v2, v2
	v_fmac_f32_e32 v0, 0xcf800000, v2
	v_cvt_u32_f32_e32 v6, v2
	v_cvt_u32_f32_e32 v5, v0
	s_mov_b64 s[8:9], -1
	s_mov_b64 s[0:1], 0
	s_mov_b64 s[10:11], 0
	global_store_dwordx2 v[3:4], v[5:6], off
	s_branch .LBB18_61
.LBB18_60:
	s_mov_b64 s[10:11], 0
.LBB18_61:
	s_and_b64 vcc, exec, s[10:11]
	s_cbranch_vccz .LBB18_77
; %bb.62:
	s_cmp_lt_i32 s15, 27
	s_mov_b64 s[8:9], -1
	s_cbranch_scc1 .LBB18_68
; %bb.63:
	v_cvt_u32_f32_e32 v0, v1
	s_cmp_gt_i32 s15, 27
	s_cbranch_scc0 .LBB18_65
; %bb.64:
	s_mov_b64 s[8:9], 0
	global_store_dword v[3:4], v0, off
.LBB18_65:
	s_andn2_b64 vcc, exec, s[8:9]
	s_cbranch_vccnz .LBB18_67
; %bb.66:
	global_store_short v[3:4], v0, off
.LBB18_67:
	s_mov_b64 s[8:9], 0
.LBB18_68:
	s_andn2_b64 vcc, exec, s[8:9]
	s_cbranch_vccnz .LBB18_76
; %bb.69:
	v_and_b32_e32 v0, 0x7fffffff, v1
	s_mov_b32 s8, 0x43800000
	v_cmp_gt_u32_e32 vcc, s8, v0
	v_mov_b32_e32 v2, 0x80
	s_and_saveexec_b64 s[8:9], vcc
	s_cbranch_execz .LBB18_75
; %bb.70:
	s_mov_b32 s10, 0x3bffffff
	v_cmp_lt_u32_e32 vcc, s10, v0
	s_mov_b64 s[10:11], 0
                                        ; implicit-def: $vgpr0
	s_and_saveexec_b64 s[12:13], vcc
	s_xor_b64 s[12:13], exec, s[12:13]
	s_cbranch_execz .LBB18_315
; %bb.71:
	v_bfe_u32 v0, v1, 20, 1
	s_mov_b32 s16, 0x487ffff
	v_add3_u32 v0, v1, v0, s16
	s_mov_b64 s[10:11], exec
	v_lshrrev_b32_e32 v0, 20, v0
	s_andn2_saveexec_b64 s[12:13], s[12:13]
	s_cbranch_execnz .LBB18_316
.LBB18_72:
	s_or_b64 exec, exec, s[12:13]
	v_mov_b32_e32 v2, 0
	s_and_saveexec_b64 s[12:13], s[10:11]
.LBB18_73:
	v_lshrrev_b32_e32 v2, 24, v1
	s_movk_i32 s10, 0x80
	v_and_or_b32 v2, v2, s10, v0
.LBB18_74:
	s_or_b64 exec, exec, s[12:13]
.LBB18_75:
	s_or_b64 exec, exec, s[8:9]
	global_store_byte v[3:4], v2, off
.LBB18_76:
	s_mov_b64 s[8:9], -1
.LBB18_77:
	s_mov_b64 s[10:11], 0
.LBB18_78:
	s_and_b64 vcc, exec, s[10:11]
	s_cbranch_vccz .LBB18_119
; %bb.79:
	s_cmp_gt_i32 s15, 22
	s_mov_b64 s[10:11], -1
	s_cbranch_scc0 .LBB18_111
; %bb.80:
	s_cmp_lt_i32 s15, 24
	s_mov_b64 s[8:9], -1
	s_cbranch_scc1 .LBB18_100
; %bb.81:
	s_cmp_gt_i32 s15, 24
	s_cbranch_scc0 .LBB18_89
; %bb.82:
	v_and_b32_e32 v0, 0x7fffffff, v1
	s_mov_b32 s8, 0x47800000
	v_cmp_gt_u32_e32 vcc, s8, v0
	v_mov_b32_e32 v2, 0x80
	s_and_saveexec_b64 s[8:9], vcc
	s_cbranch_execz .LBB18_88
; %bb.83:
	s_mov_b32 s10, 0x37ffffff
	v_cmp_lt_u32_e32 vcc, s10, v0
	s_mov_b64 s[10:11], 0
                                        ; implicit-def: $vgpr0
	s_and_saveexec_b64 s[12:13], vcc
	s_xor_b64 s[12:13], exec, s[12:13]
	s_cbranch_execz .LBB18_319
; %bb.84:
	v_bfe_u32 v0, v1, 21, 1
	s_mov_b32 s16, 0x88fffff
	v_add3_u32 v0, v1, v0, s16
	s_mov_b64 s[10:11], exec
	v_lshrrev_b32_e32 v0, 21, v0
	s_andn2_saveexec_b64 s[12:13], s[12:13]
	s_cbranch_execnz .LBB18_320
.LBB18_85:
	s_or_b64 exec, exec, s[12:13]
	v_mov_b32_e32 v2, 0
	s_and_saveexec_b64 s[12:13], s[10:11]
.LBB18_86:
	v_lshrrev_b32_e32 v2, 24, v1
	s_movk_i32 s10, 0x80
	v_and_or_b32 v2, v2, s10, v0
.LBB18_87:
	s_or_b64 exec, exec, s[12:13]
.LBB18_88:
	s_or_b64 exec, exec, s[8:9]
	s_mov_b64 s[8:9], 0
	global_store_byte v[3:4], v2, off
.LBB18_89:
	s_and_b64 vcc, exec, s[8:9]
	s_cbranch_vccz .LBB18_99
; %bb.90:
	v_and_b32_e32 v2, 0x7fffffff, v1
	s_mov_b32 s8, 0x43f00000
	v_cmp_gt_u32_e32 vcc, s8, v2
                                        ; implicit-def: $vgpr0
	s_and_saveexec_b64 s[8:9], vcc
	s_xor_b64 s[8:9], exec, s[8:9]
	s_cbranch_execz .LBB18_96
; %bb.91:
	s_mov_b32 s10, 0x3c7fffff
	v_cmp_lt_u32_e32 vcc, s10, v2
                                        ; implicit-def: $vgpr0
	s_and_saveexec_b64 s[10:11], vcc
	s_xor_b64 s[10:11], exec, s[10:11]
; %bb.92:
	v_bfe_u32 v0, v1, 20, 1
	s_mov_b32 s12, 0x407ffff
	v_add3_u32 v0, v1, v0, s12
	v_lshrrev_b32_e32 v2, 20, v0
	v_and_b32_e32 v0, 0xff00000, v0
	s_mov_b32 s12, 0x7f00000
	v_mov_b32_e32 v5, 0x7e
	v_cmp_ne_u32_e32 vcc, s12, v0
	v_cndmask_b32_e32 v0, v5, v2, vcc
; %bb.93:
	s_andn2_saveexec_b64 s[10:11], s[10:11]
; %bb.94:
	s_mov_b32 s12, 0x46800000
	v_add_f32_e64 v0, |v1|, s12
; %bb.95:
	s_or_b64 exec, exec, s[10:11]
                                        ; implicit-def: $vgpr2
.LBB18_96:
	s_andn2_saveexec_b64 s[8:9], s[8:9]
; %bb.97:
	s_mov_b32 s10, 0x7f800000
	v_mov_b32_e32 v0, 0x7e
	v_mov_b32_e32 v5, 0x7f
	v_cmp_lt_u32_e32 vcc, s10, v2
	v_cndmask_b32_e32 v0, v0, v5, vcc
; %bb.98:
	s_or_b64 exec, exec, s[8:9]
	v_lshrrev_b32_e32 v2, 24, v1
	s_movk_i32 s8, 0x80
	v_and_or_b32 v0, v2, s8, v0
	global_store_byte v[3:4], v0, off
.LBB18_99:
	s_mov_b64 s[8:9], 0
.LBB18_100:
	s_andn2_b64 vcc, exec, s[8:9]
	s_cbranch_vccnz .LBB18_110
; %bb.101:
	v_and_b32_e32 v2, 0x7fffffff, v1
	s_mov_b32 s8, 0x47800000
	v_cmp_gt_u32_e32 vcc, s8, v2
                                        ; implicit-def: $vgpr0
	s_and_saveexec_b64 s[8:9], vcc
	s_xor_b64 s[8:9], exec, s[8:9]
	s_cbranch_execz .LBB18_107
; %bb.102:
	s_mov_b32 s10, 0x387fffff
	v_cmp_lt_u32_e32 vcc, s10, v2
                                        ; implicit-def: $vgpr0
	s_and_saveexec_b64 s[10:11], vcc
	s_xor_b64 s[10:11], exec, s[10:11]
; %bb.103:
	v_bfe_u32 v0, v1, 21, 1
	s_mov_b32 s12, 0x80fffff
	v_add3_u32 v0, v1, v0, s12
	v_lshrrev_b32_e32 v0, 21, v0
; %bb.104:
	s_andn2_saveexec_b64 s[10:11], s[10:11]
; %bb.105:
	s_mov_b32 s12, 0x43000000
	v_add_f32_e64 v0, |v1|, s12
; %bb.106:
	s_or_b64 exec, exec, s[10:11]
                                        ; implicit-def: $vgpr2
.LBB18_107:
	s_andn2_saveexec_b64 s[8:9], s[8:9]
; %bb.108:
	s_mov_b32 s10, 0x7f800000
	v_mov_b32_e32 v0, 0x7c
	v_mov_b32_e32 v5, 0x7f
	v_cmp_lt_u32_e32 vcc, s10, v2
	v_cndmask_b32_e32 v0, v0, v5, vcc
; %bb.109:
	s_or_b64 exec, exec, s[8:9]
	v_lshrrev_b32_e32 v2, 24, v1
	s_movk_i32 s8, 0x80
	v_and_or_b32 v0, v2, s8, v0
	global_store_byte v[3:4], v0, off
.LBB18_110:
	s_mov_b64 s[10:11], 0
	s_mov_b64 s[8:9], -1
.LBB18_111:
	s_andn2_b64 vcc, exec, s[10:11]
	s_cbranch_vccnz .LBB18_119
; %bb.112:
	s_cmp_gt_i32 s15, 14
	s_mov_b64 s[10:11], -1
	s_cbranch_scc0 .LBB18_116
; %bb.113:
	s_cmp_eq_u32 s15, 15
	s_mov_b64 s[0:1], -1
	s_cbranch_scc0 .LBB18_115
; %bb.114:
	v_bfe_u32 v0, v1, 16, 1
	s_movk_i32 s0, 0x7fff
	v_add3_u32 v0, v1, v0, s0
	v_cmp_o_f32_e32 vcc, v1, v1
	v_mov_b32_e32 v2, 0x7fc0
	v_cndmask_b32_sdwa v0, v2, v0, vcc dst_sel:DWORD dst_unused:UNUSED_PAD src0_sel:DWORD src1_sel:WORD_1
	global_store_short v[3:4], v0, off
	s_mov_b64 s[8:9], -1
	s_mov_b64 s[0:1], 0
.LBB18_115:
	s_mov_b64 s[10:11], 0
.LBB18_116:
	s_and_b64 vcc, exec, s[10:11]
	s_cbranch_vccz .LBB18_119
; %bb.117:
	s_cmp_eq_u32 s15, 11
	s_mov_b64 s[0:1], -1
	s_cbranch_scc0 .LBB18_119
; %bb.118:
	v_cmp_neq_f32_e32 vcc, 0, v1
	v_cndmask_b32_e64 v0, 0, 1, vcc
	s_mov_b64 s[8:9], -1
	s_mov_b64 s[0:1], 0
	global_store_byte v[3:4], v0, off
.LBB18_119:
	s_branch .LBB18_38
.LBB18_120:
	s_and_b32 s10, 0xffff, s14
	s_cmp_lt_i32 s10, 5
	s_mov_b64 s[8:9], -1
	s_cbranch_scc1 .LBB18_141
; %bb.121:
	s_cmp_lt_i32 s10, 8
	s_cbranch_scc1 .LBB18_131
; %bb.122:
	s_cmp_lt_i32 s10, 9
	s_cbranch_scc1 .LBB18_128
; %bb.123:
	s_cmp_gt_i32 s10, 9
	s_cbranch_scc0 .LBB18_125
; %bb.124:
	v_cvt_f64_f32_e32 v[9:10], v1
	v_mov_b32_e32 v11, 0
	v_mov_b32_e32 v12, v11
	s_mov_b64 s[8:9], 0
	global_store_dwordx4 v[3:4], v[9:12], off
.LBB18_125:
	s_andn2_b64 vcc, exec, s[8:9]
	s_cbranch_vccnz .LBB18_127
; %bb.126:
	v_mov_b32_e32 v2, 0
	global_store_dwordx2 v[3:4], v[1:2], off
.LBB18_127:
	s_mov_b64 s[8:9], 0
.LBB18_128:
	s_andn2_b64 vcc, exec, s[8:9]
	s_cbranch_vccnz .LBB18_130
; %bb.129:
	v_cvt_f16_f32_e32 v0, v1
	global_store_dword v[3:4], v0, off
.LBB18_130:
	s_mov_b64 s[8:9], 0
.LBB18_131:
	s_andn2_b64 vcc, exec, s[8:9]
	s_cbranch_vccnz .LBB18_140
; %bb.132:
	s_cmp_lt_i32 s10, 6
	s_mov_b64 s[8:9], -1
	s_cbranch_scc1 .LBB18_138
; %bb.133:
	s_cmp_gt_i32 s10, 6
	s_cbranch_scc0 .LBB18_135
; %bb.134:
	v_cvt_f64_f32_e32 v[5:6], v1
	s_mov_b64 s[8:9], 0
	global_store_dwordx2 v[3:4], v[5:6], off
.LBB18_135:
	s_andn2_b64 vcc, exec, s[8:9]
	s_cbranch_vccnz .LBB18_137
; %bb.136:
	global_store_dword v[3:4], v1, off
.LBB18_137:
	s_mov_b64 s[8:9], 0
.LBB18_138:
	s_andn2_b64 vcc, exec, s[8:9]
	s_cbranch_vccnz .LBB18_140
; %bb.139:
	v_cvt_f16_f32_e32 v0, v1
	global_store_short v[3:4], v0, off
.LBB18_140:
	s_mov_b64 s[8:9], 0
.LBB18_141:
	s_andn2_b64 vcc, exec, s[8:9]
	s_cbranch_vccnz .LBB18_157
; %bb.142:
	s_cmp_lt_i32 s10, 2
	s_mov_b64 s[8:9], -1
	s_cbranch_scc1 .LBB18_152
; %bb.143:
	s_cmp_lt_i32 s10, 3
	s_cbranch_scc1 .LBB18_149
; %bb.144:
	s_cmp_gt_i32 s10, 3
	s_cbranch_scc0 .LBB18_146
; %bb.145:
	v_trunc_f32_e32 v0, v1
	s_mov_b32 s8, 0x2f800000
	v_mul_f32_e64 v2, |v0|, s8
	v_floor_f32_e32 v2, v2
	s_mov_b32 s8, 0xcf800000
	v_cvt_u32_f32_e32 v5, v2
	v_fma_f32 v2, v2, s8, |v0|
	v_cvt_u32_f32_e32 v2, v2
	v_ashrrev_i32_e32 v0, 31, v0
	v_xor_b32_e32 v6, v5, v0
	s_mov_b64 s[8:9], 0
	v_xor_b32_e32 v2, v2, v0
	v_sub_co_u32_e32 v5, vcc, v2, v0
	v_subb_co_u32_e32 v6, vcc, v6, v0, vcc
	global_store_dwordx2 v[3:4], v[5:6], off
.LBB18_146:
	s_andn2_b64 vcc, exec, s[8:9]
	s_cbranch_vccnz .LBB18_148
; %bb.147:
	v_cvt_i32_f32_e32 v0, v1
	global_store_dword v[3:4], v0, off
.LBB18_148:
	s_mov_b64 s[8:9], 0
.LBB18_149:
	s_andn2_b64 vcc, exec, s[8:9]
	s_cbranch_vccnz .LBB18_151
; %bb.150:
	v_cvt_i32_f32_e32 v0, v1
	global_store_short v[3:4], v0, off
.LBB18_151:
	s_mov_b64 s[8:9], 0
.LBB18_152:
	s_andn2_b64 vcc, exec, s[8:9]
	s_cbranch_vccnz .LBB18_157
; %bb.153:
	s_cmp_gt_i32 s10, 0
	s_mov_b64 s[8:9], -1
	s_cbranch_scc0 .LBB18_155
; %bb.154:
	v_cvt_i32_f32_e32 v0, v1
	s_mov_b64 s[8:9], 0
	global_store_byte v[3:4], v0, off
.LBB18_155:
	s_andn2_b64 vcc, exec, s[8:9]
	s_cbranch_vccnz .LBB18_157
; %bb.156:
	v_trunc_f32_e32 v0, v1
	s_mov_b32 s8, 0x2f800000
	v_mul_f32_e64 v1, |v0|, s8
	v_floor_f32_e32 v1, v1
	s_mov_b32 s8, 0xcf800000
	v_fma_f32 v1, v1, s8, |v0|
	v_cvt_u32_f32_e32 v1, v1
	v_ashrrev_i32_e32 v0, 31, v0
	v_xor_b32_e32 v1, v1, v0
	v_sub_u32_e32 v0, v1, v0
	global_store_byte v[3:4], v0, off
.LBB18_157:
.LBB18_158:
	v_add_u32_e32 v8, 0x80, v8
	s_mov_b64 s[8:9], -1
	s_branch .LBB18_269
.LBB18_159:
	s_mov_b64 s[2:3], -1
                                        ; implicit-def: $vgpr3
.LBB18_160:
	s_mov_b64 s[8:9], 0
.LBB18_161:
	s_and_b64 vcc, exec, s[8:9]
	s_cbranch_vccz .LBB18_165
; %bb.162:
	s_cmp_eq_u32 s12, 29
	s_cbranch_scc0 .LBB18_164
; %bb.163:
	global_load_dwordx2 v[3:4], v[1:2], off
	s_mov_b64 s[0:1], -1
	s_mov_b64 s[2:3], 0
	s_mov_b64 s[8:9], 0
	s_waitcnt vmcnt(0)
	v_ffbh_u32_e32 v5, v4
	v_min_u32_e32 v5, 32, v5
	v_lshlrev_b64 v[3:4], v5, v[3:4]
	v_min_u32_e32 v3, 1, v3
	v_or_b32_e32 v3, v4, v3
	v_cvt_f32_u32_e32 v3, v3
	v_sub_u32_e32 v4, 32, v5
	v_ldexp_f32 v3, v3, v4
	s_branch .LBB18_166
.LBB18_164:
	s_mov_b64 s[2:3], -1
                                        ; implicit-def: $vgpr3
.LBB18_165:
	s_mov_b64 s[8:9], 0
.LBB18_166:
	s_and_b64 vcc, exec, s[8:9]
	s_cbranch_vccz .LBB18_184
; %bb.167:
	s_cmp_lt_i32 s12, 27
	s_cbranch_scc1 .LBB18_170
; %bb.168:
	s_cmp_gt_i32 s12, 27
	s_cbranch_scc0 .LBB18_171
; %bb.169:
	global_load_dword v3, v[1:2], off
	s_mov_b64 s[0:1], 0
	s_waitcnt vmcnt(0)
	v_cvt_f32_u32_e32 v3, v3
	s_branch .LBB18_172
.LBB18_170:
	s_mov_b64 s[0:1], -1
                                        ; implicit-def: $vgpr3
	s_branch .LBB18_175
.LBB18_171:
	s_mov_b64 s[0:1], -1
                                        ; implicit-def: $vgpr3
.LBB18_172:
	s_andn2_b64 vcc, exec, s[0:1]
	s_cbranch_vccnz .LBB18_174
; %bb.173:
	global_load_ushort v3, v[1:2], off
	s_waitcnt vmcnt(0)
	v_cvt_f32_u32_e32 v3, v3
.LBB18_174:
	s_mov_b64 s[0:1], 0
.LBB18_175:
	s_andn2_b64 vcc, exec, s[0:1]
	s_cbranch_vccnz .LBB18_183
; %bb.176:
	global_load_ubyte v4, v[1:2], off
	s_movk_i32 s0, 0x7f
	s_waitcnt vmcnt(0)
	v_cmp_lt_i16_e32 vcc, s0, v4
	s_mov_b64 s[0:1], 0
	s_and_saveexec_b64 s[8:9], vcc
	s_xor_b64 s[8:9], exec, s[8:9]
	s_cbranch_execz .LBB18_196
; %bb.177:
	s_movk_i32 s0, 0x80
	v_cmp_eq_u16_e32 vcc, s0, v4
	s_mov_b64 s[0:1], -1
	s_and_saveexec_b64 s[10:11], vcc
; %bb.178:
	s_xor_b64 s[0:1], exec, -1
; %bb.179:
	s_or_b64 exec, exec, s[10:11]
	s_and_b64 s[0:1], s[0:1], exec
	s_or_saveexec_b64 s[8:9], s[8:9]
	v_mov_b32_e32 v3, 0x7f800001
	s_xor_b64 exec, exec, s[8:9]
	s_cbranch_execnz .LBB18_197
.LBB18_180:
	s_or_b64 exec, exec, s[8:9]
	s_and_saveexec_b64 s[8:9], s[0:1]
	s_cbranch_execz .LBB18_182
.LBB18_181:
	v_lshlrev_b32_e32 v3, 24, v4
	v_and_b32_e32 v4, 0xffff, v4
	v_and_b32_e32 v5, 7, v4
	v_ffbh_u32_e32 v7, v5
	v_min_u32_e32 v7, 32, v7
	v_subrev_u32_e32 v9, 28, v7
	v_bfe_u32 v6, v4, 3, 4
	v_lshlrev_b32_e32 v4, v9, v4
	v_sub_u32_e32 v7, 29, v7
	v_and_b32_e32 v4, 7, v4
	v_cmp_eq_u32_e32 vcc, 0, v6
	v_cndmask_b32_e32 v6, v6, v7, vcc
	v_cndmask_b32_e32 v4, v5, v4, vcc
	v_mov_b32_e32 v5, 0x3b800000
	v_lshlrev_b32_e32 v4, 20, v4
	v_and_b32_e32 v3, 0x80000000, v3
	v_lshl_add_u32 v5, v6, 23, v5
	v_or3_b32 v3, v3, v5, v4
.LBB18_182:
	s_or_b64 exec, exec, s[8:9]
.LBB18_183:
	s_mov_b64 s[0:1], -1
.LBB18_184:
	s_branch .LBB18_219
.LBB18_185:
	s_cmp_gt_i32 s12, 22
	s_cbranch_scc0 .LBB18_195
; %bb.186:
	s_cmp_lt_i32 s12, 24
	s_cbranch_scc1 .LBB18_198
; %bb.187:
	s_cmp_gt_i32 s12, 24
	s_cbranch_scc0 .LBB18_199
; %bb.188:
	global_load_ubyte v4, v[1:2], off
	s_movk_i32 s0, 0x7f
	s_waitcnt vmcnt(0)
	v_cmp_lt_i16_e32 vcc, s0, v4
	s_mov_b64 s[0:1], 0
	s_and_saveexec_b64 s[8:9], vcc
	s_xor_b64 s[8:9], exec, s[8:9]
	s_cbranch_execz .LBB18_211
; %bb.189:
	s_movk_i32 s0, 0x80
	v_cmp_eq_u16_e32 vcc, s0, v4
	s_mov_b64 s[0:1], -1
	s_and_saveexec_b64 s[10:11], vcc
; %bb.190:
	s_xor_b64 s[0:1], exec, -1
; %bb.191:
	s_or_b64 exec, exec, s[10:11]
	s_and_b64 s[0:1], s[0:1], exec
	s_or_saveexec_b64 s[8:9], s[8:9]
	v_mov_b32_e32 v3, 0x7f800001
	s_xor_b64 exec, exec, s[8:9]
	s_cbranch_execnz .LBB18_212
.LBB18_192:
	s_or_b64 exec, exec, s[8:9]
	s_and_saveexec_b64 s[8:9], s[0:1]
	s_cbranch_execz .LBB18_194
.LBB18_193:
	v_lshlrev_b32_e32 v3, 24, v4
	v_and_b32_e32 v4, 0xffff, v4
	v_and_b32_e32 v5, 3, v4
	v_ffbh_u32_e32 v7, v5
	v_min_u32_e32 v7, 32, v7
	v_subrev_u32_e32 v9, 29, v7
	v_bfe_u32 v6, v4, 2, 5
	v_lshlrev_b32_e32 v4, v9, v4
	v_sub_u32_e32 v7, 30, v7
	v_and_b32_e32 v4, 3, v4
	v_cmp_eq_u32_e32 vcc, 0, v6
	v_cndmask_b32_e32 v6, v6, v7, vcc
	v_cndmask_b32_e32 v4, v5, v4, vcc
	v_mov_b32_e32 v5, 0x37800000
	v_lshlrev_b32_e32 v4, 21, v4
	v_and_b32_e32 v3, 0x80000000, v3
	v_lshl_add_u32 v5, v6, 23, v5
	v_or3_b32 v3, v3, v5, v4
.LBB18_194:
	s_or_b64 exec, exec, s[8:9]
	s_mov_b64 s[0:1], 0
	s_branch .LBB18_200
.LBB18_195:
	s_mov_b64 s[8:9], -1
                                        ; implicit-def: $vgpr3
	s_branch .LBB18_206
.LBB18_196:
	s_or_saveexec_b64 s[8:9], s[8:9]
	v_mov_b32_e32 v3, 0x7f800001
	s_xor_b64 exec, exec, s[8:9]
	s_cbranch_execz .LBB18_180
.LBB18_197:
	v_cmp_ne_u16_e32 vcc, 0, v4
	s_andn2_b64 s[0:1], s[0:1], exec
	s_and_b64 s[10:11], vcc, exec
	v_mov_b32_e32 v3, 0
	s_or_b64 s[0:1], s[0:1], s[10:11]
	s_or_b64 exec, exec, s[8:9]
	s_and_saveexec_b64 s[8:9], s[0:1]
	s_cbranch_execnz .LBB18_181
	s_branch .LBB18_182
.LBB18_198:
	s_mov_b64 s[0:1], -1
                                        ; implicit-def: $vgpr3
	s_branch .LBB18_203
.LBB18_199:
	s_mov_b64 s[0:1], -1
                                        ; implicit-def: $vgpr3
.LBB18_200:
	s_and_b64 vcc, exec, s[0:1]
	s_cbranch_vccz .LBB18_202
; %bb.201:
	global_load_ubyte v3, v[1:2], off
	s_mov_b32 s0, 0x7f800000
	s_waitcnt vmcnt(0)
	v_lshlrev_b32_e32 v3, 24, v3
	v_and_b32_e32 v4, 0x7f000000, v3
	v_ffbh_u32_e32 v5, v4
	v_min_u32_e32 v5, 32, v5
	v_sub_u32_e64 v5, v5, 4 clamp
	v_lshlrev_b32_e32 v7, v5, v4
	v_lshlrev_b32_e32 v5, 23, v5
	v_lshrrev_b32_e32 v7, 4, v7
	v_add_u32_e32 v6, 0x1000000, v4
	v_sub_u32_e32 v5, v7, v5
	v_ashrrev_i32_e32 v6, 8, v6
	v_add_u32_e32 v5, 0x3c000000, v5
	v_and_or_b32 v5, v6, s0, v5
	v_cmp_ne_u32_e32 vcc, 0, v4
	v_cndmask_b32_e32 v4, 0, v5, vcc
	s_brev_b32 s0, 1
	v_and_or_b32 v3, v3, s0, v4
.LBB18_202:
	s_mov_b64 s[0:1], 0
.LBB18_203:
	s_andn2_b64 vcc, exec, s[0:1]
	s_cbranch_vccnz .LBB18_205
; %bb.204:
	global_load_ubyte v3, v[1:2], off
	s_movk_i32 s0, 0x7f00
	s_brev_b32 s1, 16
	s_waitcnt vmcnt(0)
	v_lshlrev_b16_e32 v4, 8, v3
	v_lshlrev_b32_e32 v3, 25, v3
	v_lshrrev_b32_e32 v5, 4, v3
	v_and_or_b32 v6, v4, s0, 0.5
	v_or_b32_e32 v5, 0x70000000, v5
	v_add_f32_e32 v6, -0.5, v6
	v_mul_f32_e32 v5, 0x7800000, v5
	v_cmp_gt_u32_e32 vcc, s1, v3
	v_bfe_i32 v4, v4, 0, 16
	v_cndmask_b32_e32 v3, v5, v6, vcc
	s_brev_b32 s0, 1
	v_and_or_b32 v3, v4, s0, v3
.LBB18_205:
	s_mov_b64 s[8:9], 0
	s_mov_b64 s[0:1], -1
.LBB18_206:
	s_andn2_b64 vcc, exec, s[8:9]
	s_cbranch_vccnz .LBB18_219
; %bb.207:
	s_cmp_gt_i32 s12, 14
	s_cbranch_scc0 .LBB18_210
; %bb.208:
	s_cmp_eq_u32 s12, 15
	s_cbranch_scc0 .LBB18_213
; %bb.209:
	global_load_ushort v3, v[1:2], off
	s_mov_b64 s[0:1], -1
	s_mov_b64 s[2:3], 0
	s_waitcnt vmcnt(0)
	v_lshlrev_b32_e32 v3, 16, v3
	s_branch .LBB18_214
.LBB18_210:
	s_mov_b64 s[8:9], -1
                                        ; implicit-def: $vgpr3
	s_branch .LBB18_215
.LBB18_211:
	s_or_saveexec_b64 s[8:9], s[8:9]
	v_mov_b32_e32 v3, 0x7f800001
	s_xor_b64 exec, exec, s[8:9]
	s_cbranch_execz .LBB18_192
.LBB18_212:
	v_cmp_ne_u16_e32 vcc, 0, v4
	s_andn2_b64 s[0:1], s[0:1], exec
	s_and_b64 s[10:11], vcc, exec
	v_mov_b32_e32 v3, 0
	s_or_b64 s[0:1], s[0:1], s[10:11]
	s_or_b64 exec, exec, s[8:9]
	s_and_saveexec_b64 s[8:9], s[0:1]
	s_cbranch_execnz .LBB18_193
	s_branch .LBB18_194
.LBB18_213:
	s_mov_b64 s[2:3], -1
                                        ; implicit-def: $vgpr3
.LBB18_214:
	s_mov_b64 s[8:9], 0
.LBB18_215:
	s_and_b64 vcc, exec, s[8:9]
	s_cbranch_vccz .LBB18_219
; %bb.216:
	s_cmp_eq_u32 s12, 11
	s_cbranch_scc0 .LBB18_218
; %bb.217:
	global_load_ubyte v3, v[1:2], off
	s_mov_b64 s[0:1], -1
	s_mov_b64 s[2:3], 0
	s_waitcnt vmcnt(0)
	v_cmp_ne_u16_e32 vcc, 0, v3
	v_cndmask_b32_e64 v3, 0, 1.0, vcc
	s_branch .LBB18_219
.LBB18_218:
	s_mov_b64 s[2:3], -1
                                        ; implicit-def: $vgpr3
.LBB18_219:
	s_branch .LBB18_24
.LBB18_220:
	s_cmp_lt_i32 s12, 5
	s_cbranch_scc1 .LBB18_225
; %bb.221:
	s_cmp_lt_i32 s12, 8
	s_cbranch_scc1 .LBB18_226
; %bb.222:
	;; [unrolled: 3-line block ×3, first 2 shown]
	s_cmp_gt_i32 s12, 9
	s_cbranch_scc0 .LBB18_228
; %bb.224:
	global_load_dwordx2 v[3:4], v[1:2], off
	s_mov_b64 s[0:1], 0
	s_waitcnt vmcnt(0)
	v_cvt_f32_f64_e32 v3, v[3:4]
	s_branch .LBB18_229
.LBB18_225:
                                        ; implicit-def: $vgpr3
	s_branch .LBB18_247
.LBB18_226:
	s_mov_b64 s[0:1], -1
                                        ; implicit-def: $vgpr3
	s_branch .LBB18_235
.LBB18_227:
	s_mov_b64 s[0:1], -1
                                        ; implicit-def: $vgpr3
	s_branch .LBB18_232
.LBB18_228:
	s_mov_b64 s[0:1], -1
                                        ; implicit-def: $vgpr3
.LBB18_229:
	s_andn2_b64 vcc, exec, s[0:1]
	s_cbranch_vccnz .LBB18_231
; %bb.230:
	global_load_dword v3, v[1:2], off
.LBB18_231:
	s_mov_b64 s[0:1], 0
.LBB18_232:
	s_andn2_b64 vcc, exec, s[0:1]
	s_cbranch_vccnz .LBB18_234
; %bb.233:
	global_load_dword v3, v[1:2], off
	s_waitcnt vmcnt(0)
	v_cvt_f32_f16_e32 v3, v3
.LBB18_234:
	s_mov_b64 s[0:1], 0
.LBB18_235:
	s_andn2_b64 vcc, exec, s[0:1]
	s_cbranch_vccnz .LBB18_246
; %bb.236:
	s_cmp_lt_i32 s12, 6
	s_cbranch_scc1 .LBB18_239
; %bb.237:
	s_cmp_gt_i32 s12, 6
	s_cbranch_scc0 .LBB18_240
; %bb.238:
	global_load_dwordx2 v[3:4], v[1:2], off
	s_mov_b64 s[0:1], 0
	s_waitcnt vmcnt(0)
	v_cvt_f32_f64_e32 v3, v[3:4]
	s_branch .LBB18_241
.LBB18_239:
	s_mov_b64 s[0:1], -1
                                        ; implicit-def: $vgpr3
	s_branch .LBB18_244
.LBB18_240:
	s_mov_b64 s[0:1], -1
                                        ; implicit-def: $vgpr3
.LBB18_241:
	s_andn2_b64 vcc, exec, s[0:1]
	s_cbranch_vccnz .LBB18_243
; %bb.242:
	global_load_dword v3, v[1:2], off
.LBB18_243:
	s_mov_b64 s[0:1], 0
.LBB18_244:
	s_andn2_b64 vcc, exec, s[0:1]
	s_cbranch_vccnz .LBB18_246
; %bb.245:
	global_load_ushort v3, v[1:2], off
	s_waitcnt vmcnt(0)
	v_cvt_f32_f16_e32 v3, v3
.LBB18_246:
	s_cbranch_execnz .LBB18_266
.LBB18_247:
	s_cmp_lt_i32 s12, 2
	s_cbranch_scc1 .LBB18_251
; %bb.248:
	s_cmp_lt_i32 s12, 3
	s_cbranch_scc1 .LBB18_252
; %bb.249:
	s_cmp_gt_i32 s12, 3
	s_cbranch_scc0 .LBB18_253
; %bb.250:
	global_load_dwordx2 v[3:4], v[1:2], off
	s_mov_b64 s[0:1], 0
	s_waitcnt vmcnt(0)
	v_xor_b32_e32 v6, v3, v4
	v_ffbh_i32_e32 v5, v4
	v_ashrrev_i32_e32 v6, 31, v6
	v_add_u32_e32 v5, -1, v5
	v_add_u32_e32 v6, 32, v6
	v_min_u32_e32 v5, v5, v6
	v_lshlrev_b64 v[3:4], v5, v[3:4]
	v_min_u32_e32 v3, 1, v3
	v_or_b32_e32 v3, v4, v3
	v_cvt_f32_i32_e32 v3, v3
	v_sub_u32_e32 v4, 32, v5
	v_ldexp_f32 v3, v3, v4
	s_branch .LBB18_254
.LBB18_251:
	s_mov_b64 s[0:1], -1
                                        ; implicit-def: $vgpr3
	s_branch .LBB18_260
.LBB18_252:
	s_mov_b64 s[0:1], -1
                                        ; implicit-def: $vgpr3
	s_branch .LBB18_257
.LBB18_253:
	s_mov_b64 s[0:1], -1
                                        ; implicit-def: $vgpr3
.LBB18_254:
	s_andn2_b64 vcc, exec, s[0:1]
	s_cbranch_vccnz .LBB18_256
; %bb.255:
	global_load_dword v3, v[1:2], off
	s_waitcnt vmcnt(0)
	v_cvt_f32_i32_e32 v3, v3
.LBB18_256:
	s_mov_b64 s[0:1], 0
.LBB18_257:
	s_andn2_b64 vcc, exec, s[0:1]
	s_cbranch_vccnz .LBB18_259
; %bb.258:
	global_load_sshort v3, v[1:2], off
	s_waitcnt vmcnt(0)
	v_cvt_f32_i32_e32 v3, v3
.LBB18_259:
	s_mov_b64 s[0:1], 0
.LBB18_260:
	s_andn2_b64 vcc, exec, s[0:1]
	s_cbranch_vccnz .LBB18_266
; %bb.261:
	s_cmp_gt_i32 s12, 0
	s_cbranch_scc0 .LBB18_263
; %bb.262:
	global_load_sbyte v3, v[1:2], off
	s_mov_b64 s[0:1], 0
	s_waitcnt vmcnt(0)
	v_cvt_f32_i32_e32 v3, v3
	s_branch .LBB18_264
.LBB18_263:
	s_mov_b64 s[0:1], -1
                                        ; implicit-def: $vgpr3
.LBB18_264:
	s_andn2_b64 vcc, exec, s[0:1]
	s_cbranch_vccnz .LBB18_266
; %bb.265:
	global_load_ubyte v1, v[1:2], off
	s_waitcnt vmcnt(0)
	v_cvt_f32_ubyte0_e32 v3, v1
.LBB18_266:
	s_branch .LBB18_25
.LBB18_267:
	s_mov_b64 s[0:1], 0
.LBB18_268:
	s_mov_b64 s[8:9], 0
                                        ; implicit-def: $vgpr8
.LBB18_269:
	s_and_b64 s[52:53], s[0:1], exec
	s_and_b64 s[54:55], s[2:3], exec
	s_orn2_b64 s[2:3], s[8:9], exec
.LBB18_270:
	s_or_b64 exec, exec, s[56:57]
	s_mov_b64 s[10:11], 0
	s_mov_b64 s[0:1], 0
                                        ; implicit-def: $vgpr1_vgpr2
                                        ; implicit-def: $vgpr0
                                        ; implicit-def: $vgpr5
	s_and_saveexec_b64 s[56:57], s[2:3]
	s_cbranch_execz .LBB18_277
; %bb.271:
	v_cmp_gt_i32_e32 vcc, s70, v8
	s_mov_b64 s[0:1], -1
	s_mov_b64 s[58:59], s[54:55]
	s_mov_b64 s[60:61], s[52:53]
	s_and_saveexec_b64 s[62:63], vcc
	s_cbranch_execz .LBB18_550
; %bb.272:
	s_andn2_b64 vcc, exec, s[40:41]
	s_cbranch_vccnz .LBB18_280
; %bb.273:
	s_andn2_b64 vcc, exec, s[50:51]
	s_cbranch_vccnz .LBB18_281
; %bb.274:
	s_add_i32 s65, s75, 1
	s_cmp_eq_u32 s72, 2
	s_cbranch_scc1 .LBB18_282
; %bb.275:
	s_and_b32 s64, s65, 28
	v_mov_b32_e32 v2, 0
	s_mov_b32 s66, 0
	s_mov_b64 s[58:59], s[34:35]
	s_mov_b64 s[60:61], s[48:49]
	v_mov_b32_e32 v0, 0
	v_mov_b32_e32 v1, v8
.LBB18_276:                             ; =>This Inner Loop Header: Depth=1
	s_load_dwordx8 s[16:23], s[58:59], 0x4
	s_load_dwordx4 s[0:3], s[58:59], 0x24
	s_load_dwordx8 s[8:15], s[60:61], 0x0
	s_add_u32 s58, s58, 48
	s_addc_u32 s59, s59, 0
	s_waitcnt vmcnt(0) lgkmcnt(0)
	v_mul_hi_u32 v3, s17, v1
	s_add_i32 s66, s66, 4
	s_add_u32 s60, s60, 32
	s_addc_u32 s61, s61, 0
	v_add_u32_e32 v3, v1, v3
	v_lshrrev_b32_e32 v3, s18, v3
	v_mul_lo_u32 v4, v3, s16
	v_mul_hi_u32 v5, s20, v3
	s_cmp_eq_u32 s64, s66
	v_sub_u32_e32 v1, v1, v4
	v_add_u32_e32 v4, v3, v5
	v_mul_lo_u32 v5, v1, s8
	v_mul_lo_u32 v6, v1, s9
	v_lshrrev_b32_e32 v1, s21, v4
	v_mul_lo_u32 v4, v1, s19
	v_mul_hi_u32 v7, s23, v1
	v_sub_u32_e32 v3, v3, v4
	v_add_u32_e32 v4, v1, v7
	v_lshrrev_b32_e32 v4, s0, v4
	v_mul_hi_u32 v9, s2, v4
	v_mul_lo_u32 v10, v4, s22
	v_mul_lo_u32 v7, v3, s10
	;; [unrolled: 1-line block ×3, first 2 shown]
	v_sub_u32_e32 v10, v1, v10
	v_add_u32_e32 v1, v4, v9
	v_lshrrev_b32_e32 v1, s3, v1
	v_mul_lo_u32 v9, v1, s1
	v_mul_lo_u32 v11, v10, s12
	;; [unrolled: 1-line block ×3, first 2 shown]
	v_add3_u32 v0, v5, v0, v7
	v_sub_u32_e32 v4, v4, v9
	v_mul_lo_u32 v9, v4, s14
	v_mul_lo_u32 v4, v4, s15
	v_add3_u32 v2, v6, v2, v3
	v_add3_u32 v0, v11, v0, v9
	;; [unrolled: 1-line block ×3, first 2 shown]
	s_cbranch_scc0 .LBB18_276
	s_branch .LBB18_283
.LBB18_277:
	s_or_b64 exec, exec, s[56:57]
	s_mov_b64 s[2:3], 0
	s_and_saveexec_b64 s[8:9], s[54:55]
	s_cbranch_execnz .LBB18_930
.LBB18_278:
	s_or_b64 exec, exec, s[8:9]
	s_and_saveexec_b64 s[8:9], s[60:61]
	s_xor_b64 s[8:9], exec, s[8:9]
	s_cbranch_execz .LBB18_931
.LBB18_279:
	global_load_ubyte v3, v[1:2], off
	s_or_b64 s[0:1], s[0:1], exec
	s_waitcnt vmcnt(0)
	v_cmp_ne_u16_e32 vcc, 0, v3
	v_cndmask_b32_e64 v5, 0, 1.0, vcc
	s_or_b64 exec, exec, s[8:9]
	s_and_saveexec_b64 s[8:9], s[10:11]
	s_cbranch_execz .LBB18_977
	s_branch .LBB18_932
.LBB18_280:
                                        ; implicit-def: $vgpr0
                                        ; implicit-def: $vgpr2
	s_andn2_b64 vcc, exec, s[0:1]
	s_cbranch_vccz .LBB18_287
	s_branch .LBB18_289
.LBB18_281:
	v_mov_b32_e32 v0, 0
	v_mov_b32_e32 v2, 0
	s_branch .LBB18_286
.LBB18_282:
	s_mov_b32 s64, 0
	v_mov_b32_e32 v0, 0
	v_mov_b32_e32 v2, 0
	;; [unrolled: 1-line block ×3, first 2 shown]
.LBB18_283:
	s_and_b32 s8, s65, 3
	s_cmp_eq_u32 s8, 0
	s_cbranch_scc1 .LBB18_286
; %bb.284:
	s_lshl_b32 s0, s64, 3
	s_add_u32 s0, s34, s0
	s_addc_u32 s1, s35, 0
	s_add_u32 s0, s0, 0xc4
	s_addc_u32 s1, s1, 0
	s_mul_i32 s2, s64, 12
	s_add_u32 s2, s34, s2
	s_addc_u32 s3, s35, 0
.LBB18_285:                             ; =>This Inner Loop Header: Depth=1
	s_load_dwordx2 s[10:11], s[2:3], 0x4
	s_load_dword s9, s[2:3], 0xc
	s_load_dwordx2 s[12:13], s[0:1], 0x0
	s_add_u32 s2, s2, 12
	s_addc_u32 s3, s3, 0
	s_waitcnt vmcnt(0) lgkmcnt(0)
	v_mul_hi_u32 v3, s11, v1
	s_add_u32 s0, s0, 8
	s_addc_u32 s1, s1, 0
	s_add_i32 s8, s8, -1
	v_add_u32_e32 v3, v1, v3
	v_lshrrev_b32_e32 v4, s9, v3
	v_mul_lo_u32 v3, v4, s10
	s_cmp_lg_u32 s8, 0
	v_sub_u32_e32 v3, v1, v3
	v_mad_u64_u32 v[0:1], s[10:11], v3, s12, v[0:1]
	v_mad_u64_u32 v[2:3], s[10:11], v3, s13, v[2:3]
	v_mov_b32_e32 v1, v4
	s_cbranch_scc1 .LBB18_285
.LBB18_286:
	s_cbranch_execnz .LBB18_289
.LBB18_287:
	s_waitcnt lgkmcnt(0)
	v_mul_hi_u32 v0, s37, v8
	s_andn2_b64 vcc, exec, s[46:47]
	v_add_u32_e32 v0, v8, v0
	v_lshrrev_b32_e32 v1, s38, v0
	v_mul_lo_u32 v0, v1, s36
	v_sub_u32_e32 v2, v8, v0
	v_mul_lo_u32 v0, v2, s28
	v_mul_lo_u32 v2, v2, s29
	s_cbranch_vccnz .LBB18_289
; %bb.288:
	s_waitcnt vmcnt(0)
	v_mul_hi_u32 v3, s44, v1
	v_add_u32_e32 v3, v1, v3
	v_lshrrev_b32_e32 v3, s45, v3
	v_mul_lo_u32 v3, v3, s39
	v_sub_u32_e32 v3, v1, v3
	v_mad_u64_u32 v[0:1], s[0:1], v3, s30, v[0:1]
	v_mad_u64_u32 v[2:3], s[0:1], v3, s31, v[2:3]
.LBB18_289:
	s_waitcnt vmcnt(0) lgkmcnt(0)
	v_mov_b32_e32 v3, s27
	s_and_b32 s12, 0xffff, s74
	v_add_co_u32_e32 v1, vcc, s26, v2
	s_cmp_lt_i32 s12, 11
	v_addc_co_u32_e32 v2, vcc, 0, v3, vcc
	s_cbranch_scc1 .LBB18_296
; %bb.290:
	s_cmp_gt_i32 s12, 25
	s_cbranch_scc0 .LBB18_309
; %bb.291:
	s_cmp_gt_i32 s12, 28
	s_cbranch_scc0 .LBB18_311
	;; [unrolled: 3-line block ×4, first 2 shown]
; %bb.294:
	s_cmp_eq_u32 s12, 46
	s_mov_b64 s[8:9], 0
	s_cbranch_scc0 .LBB18_321
; %bb.295:
	global_load_dword v3, v[1:2], off
	s_mov_b64 s[0:1], -1
	s_mov_b64 s[2:3], 0
	s_waitcnt vmcnt(0)
	v_lshlrev_b32_e32 v3, 16, v3
	s_branch .LBB18_322
.LBB18_296:
	s_mov_b64 s[0:1], 0
                                        ; implicit-def: $vgpr3
	s_mov_b64 s[2:3], s[54:55]
	s_cbranch_execnz .LBB18_499
.LBB18_297:
	s_andn2_b64 vcc, exec, s[0:1]
	s_cbranch_vccnz .LBB18_547
.LBB18_298:
	s_mov_b32 s0, 0x41000000
	s_waitcnt vmcnt(0)
	v_cmp_le_f32_e64 s[0:1], |v3|, s0
                                        ; implicit-def: $vgpr1
	s_and_saveexec_b64 s[8:9], s[0:1]
	s_xor_b64 s[0:1], exec, s[8:9]
	s_cbranch_execz .LBB18_300
; %bb.299:
	v_fma_f32 v1, |v3|, 0.5, -2.0
	v_mov_b32_e32 v2, 0x24199b15
	v_fmac_f32_e32 v2, 0xa2a2e5b9, v1
	v_mov_b32_e32 v4, 0x22a2e5b9
	v_fmac_f32_e32 v4, v1, v2
	v_add_f32_e32 v4, 0xa58c275c, v4
	v_fma_f32 v2, v1, v4, -v2
	v_add_f32_e32 v2, 0x26f736c5, v2
	v_fma_f32 v4, v1, v2, -v4
	;; [unrolled: 2-line block ×22, first 2 shown]
	v_add_f32_e32 v4, 0xbcc274f8, v4
	s_mov_b32 s8, 0x3fb8aa3b
	v_fma_f32 v2, v1, v4, -v2
	v_mul_f32_e64 v5, |v3|, s8
	v_add_f32_e32 v2, 0x3d49f456, v2
	v_rndne_f32_e32 v6, v5
	v_fma_f32 v4, v1, v2, -v4
	v_sub_f32_e32 v7, v5, v6
	v_fma_f32 v5, |v3|, s8, -v5
	s_mov_b32 s8, 0x32a5705f
	v_add_f32_e32 v4, 0xbdc25b82, v4
	v_fma_f32 v5, |v3|, s8, v5
	v_fma_f32 v2, v1, v4, -v2
	v_add_f32_e32 v5, v7, v5
	v_add_f32_e32 v2, 0x3e2fbd64, v2
	v_exp_f32_e32 v5, v5
	v_cvt_i32_f32_e32 v6, v6
	v_fma_f32 v4, v1, v2, -v4
	v_add_f32_e32 v4, 0xbe9bff5e, v4
	v_fma_f32 v1, v1, v4, -v2
	s_mov_b32 s8, 0xc2ce8ed0
	v_add_f32_e32 v1, 0x3f2d4275, v1
	v_ldexp_f32 v4, v5, v6
	v_cmp_nlt_f32_e64 vcc, |v3|, s8
	s_mov_b32 s8, 0x42b17218
	v_cndmask_b32_e32 v4, 0, v4, vcc
	v_mov_b32_e32 v5, 0x7f800000
	v_cmp_ngt_f32_e64 vcc, |v3|, s8
	v_sub_f32_e32 v1, v1, v2
	v_cndmask_b32_e32 v3, v5, v4, vcc
	v_mul_f32_e32 v1, 0.5, v1
	v_mul_f32_e32 v1, v3, v1
                                        ; implicit-def: $vgpr3
.LBB18_300:
	s_andn2_saveexec_b64 s[8:9], s[0:1]
	s_cbranch_execz .LBB18_302
; %bb.301:
	v_and_b32_e32 v1, 0x7fffffff, v3
	s_mov_b32 s10, 0x42000000
	v_div_scale_f32 v2, s[0:1], v1, v1, s10
	v_div_scale_f32 v1, vcc, s10, v1, s10
	s_mov_b32 s0, 0x3fb8aa3b
	v_mul_f32_e64 v6, |v3|, s0
	s_mov_b32 s1, 0x32a5705f
	v_rndne_f32_e32 v10, v6
	v_fma_f32 v11, |v3|, s0, -v6
	s_mov_b32 s13, 0xf800000
	s_mov_b32 s14, 0x4f800000
	v_sub_f32_e32 v6, v6, v10
	v_mul_f32_e64 v9, |v3|, s14
	v_mov_b32_e32 v4, 0xa2b236d3
	v_mov_b32_e32 v5, 0x23056dbb
	s_mov_b32 s11, 0xc2ce8ed0
	v_rcp_f32_e32 v7, v2
	s_mov_b32 s12, 0x42b17218
	v_fma_f32 v12, -v2, v7, 1.0
	v_fmac_f32_e32 v7, v12, v7
	v_mul_f32_e32 v12, v1, v7
	v_fma_f32 v13, -v2, v12, v1
	v_fmac_f32_e32 v12, v13, v7
	v_fma_f32 v1, -v2, v12, v1
	v_div_fmas_f32 v1, v1, v7, v12
	v_fma_f32 v7, |v3|, s1, v11
	v_cmp_lt_f32_e64 vcc, |v3|, s13
	v_add_f32_e32 v6, v6, v7
	v_cndmask_b32_e64 v2, |v3|, v9, vcc
	v_cvt_i32_f32_e32 v9, v10
	v_exp_f32_e32 v6, v6
	v_cmp_nlt_f32_e64 s[0:1], |v3|, s11
	v_sqrt_f32_e32 v10, v2
	v_mov_b32_e32 v7, 0x7f800000
	v_ldexp_f32 v6, v6, v9
	v_cndmask_b32_e64 v6, 0, v6, s[0:1]
	v_cmp_ngt_f32_e64 s[0:1], |v3|, s12
	v_add_u32_e32 v11, -1, v10
	v_fma_f32 v12, -v11, v10, v2
	v_cndmask_b32_e64 v6, v7, v6, s[0:1]
	v_div_fixup_f32 v1, v1, |v3|, s10
	v_add_f32_e32 v1, -2.0, v1
	v_fmac_f32_e32 v4, 0xa3056dbb, v1
	v_fmac_f32_e32 v5, v1, v4
	v_add_f32_e32 v3, 0x244df0c1, v5
	v_fma_f32 v4, v1, v3, -v4
	v_add_f32_e32 v4, 0x241f9ee8, v4
	v_fma_f32 v3, v1, v4, -v3
	;; [unrolled: 2-line block ×22, first 2 shown]
	v_add_u32_e32 v4, 1, v10
	v_add_f32_e32 v1, 0x3f4df315, v1
	v_cmp_ge_f32_e64 s[0:1], 0, v12
	v_fma_f32 v5, -v4, v10, v2
	v_sub_f32_e32 v1, v1, v3
	v_cndmask_b32_e64 v3, v10, v11, s[0:1]
	v_cmp_lt_f32_e64 s[0:1], 0, v5
	v_cndmask_b32_e64 v3, v3, v4, s[0:1]
	v_mul_f32_e32 v4, 0x37800000, v3
	v_cndmask_b32_e32 v3, v3, v4, vcc
	v_mov_b32_e32 v4, 0x260
	v_mul_f32_e32 v1, 0.5, v1
	v_cmp_class_f32_e32 vcc, v2, v4
	v_mul_f32_e32 v1, v6, v1
	v_cndmask_b32_e32 v2, v3, v2, vcc
	v_div_scale_f32 v3, s[0:1], v2, v2, v1
	v_div_scale_f32 v4, vcc, v1, v2, v1
	v_rcp_f32_e32 v5, v3
	v_fma_f32 v6, -v3, v5, 1.0
	v_fmac_f32_e32 v5, v6, v5
	v_mul_f32_e32 v6, v4, v5
	v_fma_f32 v7, -v3, v6, v4
	v_fmac_f32_e32 v6, v7, v5
	v_fma_f32 v3, -v3, v6, v4
	v_div_fmas_f32 v3, v3, v5, v6
	v_div_fixup_f32 v1, v3, v2, v1
.LBB18_302:
	s_or_b64 exec, exec, s[8:9]
	v_mov_b32_e32 v2, s25
	s_and_b32 s14, s73, 0xff
	v_add_co_u32_e32 v3, vcc, s24, v0
	s_cmp_lt_i32 s14, 11
	v_addc_co_u32_e32 v4, vcc, 0, v2, vcc
	s_cbranch_scc1 .LBB18_310
; %bb.303:
	s_and_b32 s15, 0xffff, s14
	s_cmp_gt_i32 s15, 25
	s_cbranch_scc0 .LBB18_312
; %bb.304:
	s_cmp_gt_i32 s15, 28
	s_cbranch_scc0 .LBB18_314
; %bb.305:
	;; [unrolled: 3-line block ×4, first 2 shown]
	s_mov_b64 s[10:11], 0
	s_mov_b64 s[0:1], -1
	s_cmp_eq_u32 s15, 46
	s_mov_b64 s[8:9], 0
	s_cbranch_scc0 .LBB18_326
; %bb.308:
	v_bfe_u32 v0, v1, 16, 1
	s_movk_i32 s0, 0x7fff
	v_add3_u32 v0, v1, v0, s0
	v_cmp_o_f32_e32 vcc, v1, v1
	v_mov_b32_e32 v2, 0x7fc0
	v_cndmask_b32_sdwa v0, v2, v0, vcc dst_sel:DWORD dst_unused:UNUSED_PAD src0_sel:DWORD src1_sel:WORD_1
	global_store_dword v[3:4], v0, off
	s_mov_b64 s[8:9], -1
	s_mov_b64 s[0:1], 0
	s_branch .LBB18_326
.LBB18_309:
	s_mov_b64 s[8:9], -1
	s_mov_b64 s[0:1], 0
	s_mov_b64 s[2:3], s[54:55]
                                        ; implicit-def: $vgpr3
	s_branch .LBB18_463
.LBB18_310:
	s_mov_b64 s[10:11], -1
	s_mov_b64 s[8:9], 0
	s_mov_b64 s[0:1], s[52:53]
	s_branch .LBB18_395
.LBB18_311:
	s_mov_b64 s[8:9], -1
	s_mov_b64 s[0:1], 0
	s_mov_b64 s[2:3], s[54:55]
                                        ; implicit-def: $vgpr3
	s_branch .LBB18_444
.LBB18_312:
	s_mov_b64 s[10:11], -1
	s_mov_b64 s[8:9], 0
	s_mov_b64 s[0:1], s[52:53]
	s_branch .LBB18_353
.LBB18_313:
	s_mov_b64 s[8:9], -1
	s_mov_b64 s[0:1], 0
	s_mov_b64 s[2:3], s[54:55]
                                        ; implicit-def: $vgpr3
	s_branch .LBB18_439
.LBB18_314:
	s_mov_b64 s[10:11], -1
	s_mov_b64 s[8:9], 0
	s_mov_b64 s[0:1], s[52:53]
	s_branch .LBB18_336
.LBB18_315:
	s_andn2_saveexec_b64 s[12:13], s[12:13]
	s_cbranch_execz .LBB18_72
.LBB18_316:
	s_mov_b32 s16, 0x46000000
	v_add_f32_e64 v0, |v1|, s16
	v_and_b32_e32 v0, 0xff, v0
	v_cmp_ne_u32_e32 vcc, 0, v0
	s_andn2_b64 s[10:11], s[10:11], exec
	s_and_b64 s[16:17], vcc, exec
	s_or_b64 s[10:11], s[10:11], s[16:17]
	s_or_b64 exec, exec, s[12:13]
	v_mov_b32_e32 v2, 0
	s_and_saveexec_b64 s[12:13], s[10:11]
	s_cbranch_execnz .LBB18_73
	s_branch .LBB18_74
.LBB18_317:
	s_mov_b64 s[8:9], -1
	s_mov_b64 s[0:1], 0
	s_mov_b64 s[2:3], s[54:55]
                                        ; implicit-def: $vgpr3
	s_branch .LBB18_322
.LBB18_318:
	s_mov_b64 s[10:11], -1
	s_mov_b64 s[8:9], 0
	s_mov_b64 s[0:1], s[52:53]
	s_branch .LBB18_332
.LBB18_319:
	s_andn2_saveexec_b64 s[12:13], s[12:13]
	s_cbranch_execz .LBB18_85
.LBB18_320:
	s_mov_b32 s16, 0x42800000
	v_add_f32_e64 v0, |v1|, s16
	v_and_b32_e32 v0, 0xff, v0
	v_cmp_ne_u32_e32 vcc, 0, v0
	s_andn2_b64 s[10:11], s[10:11], exec
	s_and_b64 s[16:17], vcc, exec
	s_or_b64 s[10:11], s[10:11], s[16:17]
	s_or_b64 exec, exec, s[12:13]
	v_mov_b32_e32 v2, 0
	s_and_saveexec_b64 s[12:13], s[10:11]
	s_cbranch_execnz .LBB18_86
	s_branch .LBB18_87
.LBB18_321:
	s_mov_b64 s[2:3], -1
                                        ; implicit-def: $vgpr3
	s_mov_b64 s[0:1], 0
.LBB18_322:
	s_and_b64 vcc, exec, s[8:9]
	s_cbranch_vccz .LBB18_438
; %bb.323:
	s_cmp_eq_u32 s12, 44
	s_cbranch_scc0 .LBB18_437
; %bb.324:
	global_load_ubyte v3, v[1:2], off
	s_movk_i32 s2, 0xff
	v_mov_b32_e32 v4, 0x7f800001
	v_mov_b32_e32 v5, 0x400000
	s_mov_b64 s[0:1], -1
	s_waitcnt vmcnt(0)
	v_lshlrev_b32_e32 v6, 23, v3
	v_cmp_ne_u32_e32 vcc, s2, v3
	v_cndmask_b32_e32 v4, v4, v6, vcc
	v_cmp_ne_u32_e32 vcc, 0, v3
	v_cndmask_b32_e32 v3, v5, v4, vcc
	s_mov_b64 s[2:3], 0
	s_branch .LBB18_438
.LBB18_325:
	s_mov_b64 s[10:11], -1
	s_mov_b64 s[8:9], 0
	s_mov_b64 s[0:1], s[52:53]
.LBB18_326:
	s_and_b64 vcc, exec, s[10:11]
	s_cbranch_vccz .LBB18_331
; %bb.327:
	s_cmp_eq_u32 s15, 44
	s_mov_b64 s[0:1], -1
	s_cbranch_scc0 .LBB18_331
; %bb.328:
	v_bfe_u32 v0, v1, 23, 8
	s_movk_i32 s0, 0xff
	v_cmp_ne_u32_e32 vcc, s0, v0
	v_mov_b32_e32 v2, 0xff
	s_and_saveexec_b64 s[8:9], vcc
; %bb.329:
	s_mov_b32 s0, 0x3fffff
	v_and_b32_e32 v5, 0x400000, v1
	v_and_or_b32 v0, v1, s0, v0
	v_cmp_ne_u32_e32 vcc, 0, v5
	v_cmp_ne_u32_e64 s[0:1], 0, v0
	s_and_b64 s[0:1], vcc, s[0:1]
	v_lshrrev_b32_e32 v2, 23, v1
	v_cndmask_b32_e64 v0, 0, 1, s[0:1]
	v_add_u32_e32 v2, v2, v0
; %bb.330:
	s_or_b64 exec, exec, s[8:9]
	s_mov_b64 s[8:9], -1
	s_mov_b64 s[0:1], 0
	global_store_byte v[3:4], v2, off
.LBB18_331:
	s_mov_b64 s[10:11], 0
.LBB18_332:
	s_and_b64 vcc, exec, s[10:11]
	s_cbranch_vccz .LBB18_335
; %bb.333:
	s_cmp_eq_u32 s15, 29
	s_mov_b64 s[0:1], -1
	s_cbranch_scc0 .LBB18_335
; %bb.334:
	v_trunc_f32_e32 v0, v1
	v_mul_f32_e32 v2, 0x2f800000, v0
	v_floor_f32_e32 v2, v2
	v_fmac_f32_e32 v0, 0xcf800000, v2
	v_cvt_u32_f32_e32 v6, v2
	v_cvt_u32_f32_e32 v5, v0
	s_mov_b64 s[8:9], -1
	s_mov_b64 s[0:1], 0
	s_mov_b64 s[10:11], 0
	global_store_dwordx2 v[3:4], v[5:6], off
	s_branch .LBB18_336
.LBB18_335:
	s_mov_b64 s[10:11], 0
.LBB18_336:
	s_and_b64 vcc, exec, s[10:11]
	s_cbranch_vccz .LBB18_352
; %bb.337:
	s_cmp_lt_i32 s15, 27
	s_mov_b64 s[8:9], -1
	s_cbranch_scc1 .LBB18_343
; %bb.338:
	v_cvt_u32_f32_e32 v0, v1
	s_cmp_gt_i32 s15, 27
	s_cbranch_scc0 .LBB18_340
; %bb.339:
	s_mov_b64 s[8:9], 0
	global_store_dword v[3:4], v0, off
.LBB18_340:
	s_andn2_b64 vcc, exec, s[8:9]
	s_cbranch_vccnz .LBB18_342
; %bb.341:
	global_store_short v[3:4], v0, off
.LBB18_342:
	s_mov_b64 s[8:9], 0
.LBB18_343:
	s_andn2_b64 vcc, exec, s[8:9]
	s_cbranch_vccnz .LBB18_351
; %bb.344:
	v_and_b32_e32 v0, 0x7fffffff, v1
	s_mov_b32 s8, 0x43800000
	v_cmp_gt_u32_e32 vcc, s8, v0
	v_mov_b32_e32 v2, 0x80
	s_and_saveexec_b64 s[8:9], vcc
	s_cbranch_execz .LBB18_350
; %bb.345:
	s_mov_b32 s10, 0x3bffffff
	v_cmp_lt_u32_e32 vcc, s10, v0
	s_mov_b64 s[10:11], 0
                                        ; implicit-def: $vgpr0
	s_and_saveexec_b64 s[12:13], vcc
	s_xor_b64 s[12:13], exec, s[12:13]
	s_cbranch_execz .LBB18_578
; %bb.346:
	v_bfe_u32 v0, v1, 20, 1
	s_mov_b32 s16, 0x487ffff
	v_add3_u32 v0, v1, v0, s16
	s_mov_b64 s[10:11], exec
	v_lshrrev_b32_e32 v0, 20, v0
	s_andn2_saveexec_b64 s[12:13], s[12:13]
	s_cbranch_execnz .LBB18_579
.LBB18_347:
	s_or_b64 exec, exec, s[12:13]
	v_mov_b32_e32 v2, 0
	s_and_saveexec_b64 s[12:13], s[10:11]
.LBB18_348:
	v_lshrrev_b32_e32 v2, 24, v1
	s_movk_i32 s10, 0x80
	v_and_or_b32 v2, v2, s10, v0
.LBB18_349:
	s_or_b64 exec, exec, s[12:13]
.LBB18_350:
	s_or_b64 exec, exec, s[8:9]
	global_store_byte v[3:4], v2, off
.LBB18_351:
	s_mov_b64 s[8:9], -1
.LBB18_352:
	s_mov_b64 s[10:11], 0
.LBB18_353:
	s_and_b64 vcc, exec, s[10:11]
	s_cbranch_vccz .LBB18_394
; %bb.354:
	s_cmp_gt_i32 s15, 22
	s_mov_b64 s[10:11], -1
	s_cbranch_scc0 .LBB18_386
; %bb.355:
	s_cmp_lt_i32 s15, 24
	s_mov_b64 s[8:9], -1
	s_cbranch_scc1 .LBB18_375
; %bb.356:
	s_cmp_gt_i32 s15, 24
	s_cbranch_scc0 .LBB18_364
; %bb.357:
	v_and_b32_e32 v0, 0x7fffffff, v1
	s_mov_b32 s8, 0x47800000
	v_cmp_gt_u32_e32 vcc, s8, v0
	v_mov_b32_e32 v2, 0x80
	s_and_saveexec_b64 s[8:9], vcc
	s_cbranch_execz .LBB18_363
; %bb.358:
	s_mov_b32 s10, 0x37ffffff
	v_cmp_lt_u32_e32 vcc, s10, v0
	s_mov_b64 s[10:11], 0
                                        ; implicit-def: $vgpr0
	s_and_saveexec_b64 s[12:13], vcc
	s_xor_b64 s[12:13], exec, s[12:13]
	s_cbranch_execz .LBB18_581
; %bb.359:
	v_bfe_u32 v0, v1, 21, 1
	s_mov_b32 s16, 0x88fffff
	v_add3_u32 v0, v1, v0, s16
	s_mov_b64 s[10:11], exec
	v_lshrrev_b32_e32 v0, 21, v0
	s_andn2_saveexec_b64 s[12:13], s[12:13]
	s_cbranch_execnz .LBB18_582
.LBB18_360:
	s_or_b64 exec, exec, s[12:13]
	v_mov_b32_e32 v2, 0
	s_and_saveexec_b64 s[12:13], s[10:11]
.LBB18_361:
	v_lshrrev_b32_e32 v2, 24, v1
	s_movk_i32 s10, 0x80
	v_and_or_b32 v2, v2, s10, v0
.LBB18_362:
	s_or_b64 exec, exec, s[12:13]
.LBB18_363:
	s_or_b64 exec, exec, s[8:9]
	s_mov_b64 s[8:9], 0
	global_store_byte v[3:4], v2, off
.LBB18_364:
	s_and_b64 vcc, exec, s[8:9]
	s_cbranch_vccz .LBB18_374
; %bb.365:
	v_and_b32_e32 v2, 0x7fffffff, v1
	s_mov_b32 s8, 0x43f00000
	v_cmp_gt_u32_e32 vcc, s8, v2
                                        ; implicit-def: $vgpr0
	s_and_saveexec_b64 s[8:9], vcc
	s_xor_b64 s[8:9], exec, s[8:9]
	s_cbranch_execz .LBB18_371
; %bb.366:
	s_mov_b32 s10, 0x3c7fffff
	v_cmp_lt_u32_e32 vcc, s10, v2
                                        ; implicit-def: $vgpr0
	s_and_saveexec_b64 s[10:11], vcc
	s_xor_b64 s[10:11], exec, s[10:11]
; %bb.367:
	v_bfe_u32 v0, v1, 20, 1
	s_mov_b32 s12, 0x407ffff
	v_add3_u32 v0, v1, v0, s12
	v_lshrrev_b32_e32 v2, 20, v0
	v_and_b32_e32 v0, 0xff00000, v0
	s_mov_b32 s12, 0x7f00000
	v_mov_b32_e32 v5, 0x7e
	v_cmp_ne_u32_e32 vcc, s12, v0
	v_cndmask_b32_e32 v0, v5, v2, vcc
; %bb.368:
	s_andn2_saveexec_b64 s[10:11], s[10:11]
; %bb.369:
	s_mov_b32 s12, 0x46800000
	v_add_f32_e64 v0, |v1|, s12
; %bb.370:
	s_or_b64 exec, exec, s[10:11]
                                        ; implicit-def: $vgpr2
.LBB18_371:
	s_andn2_saveexec_b64 s[8:9], s[8:9]
; %bb.372:
	s_mov_b32 s10, 0x7f800000
	v_mov_b32_e32 v0, 0x7e
	v_mov_b32_e32 v5, 0x7f
	v_cmp_lt_u32_e32 vcc, s10, v2
	v_cndmask_b32_e32 v0, v0, v5, vcc
; %bb.373:
	s_or_b64 exec, exec, s[8:9]
	v_lshrrev_b32_e32 v2, 24, v1
	s_movk_i32 s8, 0x80
	v_and_or_b32 v0, v2, s8, v0
	global_store_byte v[3:4], v0, off
.LBB18_374:
	s_mov_b64 s[8:9], 0
.LBB18_375:
	s_andn2_b64 vcc, exec, s[8:9]
	s_cbranch_vccnz .LBB18_385
; %bb.376:
	v_and_b32_e32 v2, 0x7fffffff, v1
	s_mov_b32 s8, 0x47800000
	v_cmp_gt_u32_e32 vcc, s8, v2
                                        ; implicit-def: $vgpr0
	s_and_saveexec_b64 s[8:9], vcc
	s_xor_b64 s[8:9], exec, s[8:9]
	s_cbranch_execz .LBB18_382
; %bb.377:
	s_mov_b32 s10, 0x387fffff
	v_cmp_lt_u32_e32 vcc, s10, v2
                                        ; implicit-def: $vgpr0
	s_and_saveexec_b64 s[10:11], vcc
	s_xor_b64 s[10:11], exec, s[10:11]
; %bb.378:
	v_bfe_u32 v0, v1, 21, 1
	s_mov_b32 s12, 0x80fffff
	v_add3_u32 v0, v1, v0, s12
	v_lshrrev_b32_e32 v0, 21, v0
; %bb.379:
	s_andn2_saveexec_b64 s[10:11], s[10:11]
; %bb.380:
	s_mov_b32 s12, 0x43000000
	v_add_f32_e64 v0, |v1|, s12
; %bb.381:
	s_or_b64 exec, exec, s[10:11]
                                        ; implicit-def: $vgpr2
.LBB18_382:
	s_andn2_saveexec_b64 s[8:9], s[8:9]
; %bb.383:
	s_mov_b32 s10, 0x7f800000
	v_mov_b32_e32 v0, 0x7c
	v_mov_b32_e32 v5, 0x7f
	v_cmp_lt_u32_e32 vcc, s10, v2
	v_cndmask_b32_e32 v0, v0, v5, vcc
; %bb.384:
	s_or_b64 exec, exec, s[8:9]
	v_lshrrev_b32_e32 v2, 24, v1
	s_movk_i32 s8, 0x80
	v_and_or_b32 v0, v2, s8, v0
	global_store_byte v[3:4], v0, off
.LBB18_385:
	s_mov_b64 s[10:11], 0
	s_mov_b64 s[8:9], -1
.LBB18_386:
	s_andn2_b64 vcc, exec, s[10:11]
	s_cbranch_vccnz .LBB18_394
; %bb.387:
	s_cmp_gt_i32 s15, 14
	s_mov_b64 s[10:11], -1
	s_cbranch_scc0 .LBB18_391
; %bb.388:
	s_cmp_eq_u32 s15, 15
	s_mov_b64 s[0:1], -1
	s_cbranch_scc0 .LBB18_390
; %bb.389:
	v_bfe_u32 v0, v1, 16, 1
	s_movk_i32 s0, 0x7fff
	v_add3_u32 v0, v1, v0, s0
	v_cmp_o_f32_e32 vcc, v1, v1
	v_mov_b32_e32 v2, 0x7fc0
	v_cndmask_b32_sdwa v0, v2, v0, vcc dst_sel:DWORD dst_unused:UNUSED_PAD src0_sel:DWORD src1_sel:WORD_1
	global_store_short v[3:4], v0, off
	s_mov_b64 s[8:9], -1
	s_mov_b64 s[0:1], 0
.LBB18_390:
	s_mov_b64 s[10:11], 0
.LBB18_391:
	s_and_b64 vcc, exec, s[10:11]
	s_cbranch_vccz .LBB18_394
; %bb.392:
	s_cmp_eq_u32 s15, 11
	s_mov_b64 s[0:1], -1
	s_cbranch_scc0 .LBB18_394
; %bb.393:
	v_cmp_neq_f32_e32 vcc, 0, v1
	v_cndmask_b32_e64 v0, 0, 1, vcc
	s_mov_b64 s[8:9], -1
	s_mov_b64 s[0:1], 0
	global_store_byte v[3:4], v0, off
.LBB18_394:
	s_mov_b64 s[10:11], 0
.LBB18_395:
	s_and_b64 vcc, exec, s[10:11]
	s_cbranch_vccz .LBB18_434
; %bb.396:
	s_and_b32 s10, 0xffff, s14
	s_cmp_lt_i32 s10, 5
	s_mov_b64 s[8:9], -1
	s_cbranch_scc1 .LBB18_417
; %bb.397:
	s_cmp_lt_i32 s10, 8
	s_cbranch_scc1 .LBB18_407
; %bb.398:
	s_cmp_lt_i32 s10, 9
	s_cbranch_scc1 .LBB18_404
; %bb.399:
	s_cmp_gt_i32 s10, 9
	s_cbranch_scc0 .LBB18_401
; %bb.400:
	v_cvt_f64_f32_e32 v[9:10], v1
	v_mov_b32_e32 v11, 0
	v_mov_b32_e32 v12, v11
	s_mov_b64 s[8:9], 0
	global_store_dwordx4 v[3:4], v[9:12], off
.LBB18_401:
	s_andn2_b64 vcc, exec, s[8:9]
	s_cbranch_vccnz .LBB18_403
; %bb.402:
	v_mov_b32_e32 v2, 0
	global_store_dwordx2 v[3:4], v[1:2], off
.LBB18_403:
	s_mov_b64 s[8:9], 0
.LBB18_404:
	s_andn2_b64 vcc, exec, s[8:9]
	s_cbranch_vccnz .LBB18_406
; %bb.405:
	v_cvt_f16_f32_e32 v0, v1
	global_store_dword v[3:4], v0, off
.LBB18_406:
	s_mov_b64 s[8:9], 0
.LBB18_407:
	s_andn2_b64 vcc, exec, s[8:9]
	s_cbranch_vccnz .LBB18_416
; %bb.408:
	s_cmp_lt_i32 s10, 6
	s_mov_b64 s[8:9], -1
	s_cbranch_scc1 .LBB18_414
; %bb.409:
	s_cmp_gt_i32 s10, 6
	s_cbranch_scc0 .LBB18_411
; %bb.410:
	v_cvt_f64_f32_e32 v[5:6], v1
	s_mov_b64 s[8:9], 0
	global_store_dwordx2 v[3:4], v[5:6], off
.LBB18_411:
	s_andn2_b64 vcc, exec, s[8:9]
	s_cbranch_vccnz .LBB18_413
; %bb.412:
	global_store_dword v[3:4], v1, off
.LBB18_413:
	s_mov_b64 s[8:9], 0
.LBB18_414:
	s_andn2_b64 vcc, exec, s[8:9]
	s_cbranch_vccnz .LBB18_416
; %bb.415:
	v_cvt_f16_f32_e32 v0, v1
	global_store_short v[3:4], v0, off
.LBB18_416:
	s_mov_b64 s[8:9], 0
.LBB18_417:
	s_andn2_b64 vcc, exec, s[8:9]
	s_cbranch_vccnz .LBB18_433
; %bb.418:
	s_cmp_lt_i32 s10, 2
	s_mov_b64 s[8:9], -1
	s_cbranch_scc1 .LBB18_428
; %bb.419:
	s_cmp_lt_i32 s10, 3
	s_cbranch_scc1 .LBB18_425
; %bb.420:
	s_cmp_gt_i32 s10, 3
	s_cbranch_scc0 .LBB18_422
; %bb.421:
	v_trunc_f32_e32 v0, v1
	s_mov_b32 s8, 0x2f800000
	v_mul_f32_e64 v2, |v0|, s8
	v_floor_f32_e32 v2, v2
	s_mov_b32 s8, 0xcf800000
	v_cvt_u32_f32_e32 v5, v2
	v_fma_f32 v2, v2, s8, |v0|
	v_cvt_u32_f32_e32 v2, v2
	v_ashrrev_i32_e32 v0, 31, v0
	v_xor_b32_e32 v6, v5, v0
	s_mov_b64 s[8:9], 0
	v_xor_b32_e32 v2, v2, v0
	v_sub_co_u32_e32 v5, vcc, v2, v0
	v_subb_co_u32_e32 v6, vcc, v6, v0, vcc
	global_store_dwordx2 v[3:4], v[5:6], off
.LBB18_422:
	s_andn2_b64 vcc, exec, s[8:9]
	s_cbranch_vccnz .LBB18_424
; %bb.423:
	v_cvt_i32_f32_e32 v0, v1
	global_store_dword v[3:4], v0, off
.LBB18_424:
	s_mov_b64 s[8:9], 0
.LBB18_425:
	s_andn2_b64 vcc, exec, s[8:9]
	s_cbranch_vccnz .LBB18_427
; %bb.426:
	v_cvt_i32_f32_e32 v0, v1
	global_store_short v[3:4], v0, off
.LBB18_427:
	s_mov_b64 s[8:9], 0
.LBB18_428:
	s_andn2_b64 vcc, exec, s[8:9]
	s_cbranch_vccnz .LBB18_433
; %bb.429:
	s_cmp_gt_i32 s10, 0
	s_mov_b64 s[8:9], -1
	s_cbranch_scc0 .LBB18_431
; %bb.430:
	v_cvt_i32_f32_e32 v0, v1
	s_mov_b64 s[8:9], 0
	global_store_byte v[3:4], v0, off
.LBB18_431:
	s_andn2_b64 vcc, exec, s[8:9]
	s_cbranch_vccnz .LBB18_433
; %bb.432:
	v_trunc_f32_e32 v0, v1
	s_mov_b32 s8, 0x2f800000
	v_mul_f32_e64 v1, |v0|, s8
	v_floor_f32_e32 v1, v1
	s_mov_b32 s8, 0xcf800000
	v_fma_f32 v1, v1, s8, |v0|
	v_cvt_u32_f32_e32 v1, v1
	v_ashrrev_i32_e32 v0, 31, v0
	v_xor_b32_e32 v1, v1, v0
	v_sub_u32_e32 v0, v1, v0
	global_store_byte v[3:4], v0, off
.LBB18_433:
	s_mov_b64 s[8:9], -1
.LBB18_434:
	s_andn2_b64 vcc, exec, s[8:9]
	s_cbranch_vccnz .LBB18_436
; %bb.435:
	v_add_u32_e32 v8, 0x80, v8
	s_mov_b64 s[8:9], -1
	s_branch .LBB18_549
.LBB18_436:
	s_mov_b64 s[8:9], 0
	s_branch .LBB18_548
.LBB18_437:
	s_mov_b64 s[2:3], -1
                                        ; implicit-def: $vgpr3
.LBB18_438:
	s_mov_b64 s[8:9], 0
.LBB18_439:
	s_and_b64 vcc, exec, s[8:9]
	s_cbranch_vccz .LBB18_443
; %bb.440:
	s_cmp_eq_u32 s12, 29
	s_cbranch_scc0 .LBB18_442
; %bb.441:
	global_load_dwordx2 v[3:4], v[1:2], off
	s_mov_b64 s[0:1], -1
	s_mov_b64 s[2:3], 0
	s_mov_b64 s[8:9], 0
	s_waitcnt vmcnt(0)
	v_ffbh_u32_e32 v5, v4
	v_min_u32_e32 v5, 32, v5
	v_lshlrev_b64 v[3:4], v5, v[3:4]
	v_min_u32_e32 v3, 1, v3
	v_or_b32_e32 v3, v4, v3
	v_cvt_f32_u32_e32 v3, v3
	v_sub_u32_e32 v4, 32, v5
	v_ldexp_f32 v3, v3, v4
	s_branch .LBB18_444
.LBB18_442:
	s_mov_b64 s[2:3], -1
                                        ; implicit-def: $vgpr3
.LBB18_443:
	s_mov_b64 s[8:9], 0
.LBB18_444:
	s_and_b64 vcc, exec, s[8:9]
	s_cbranch_vccz .LBB18_462
; %bb.445:
	s_cmp_lt_i32 s12, 27
	s_cbranch_scc1 .LBB18_448
; %bb.446:
	s_cmp_gt_i32 s12, 27
	s_cbranch_scc0 .LBB18_449
; %bb.447:
	global_load_dword v3, v[1:2], off
	s_mov_b64 s[0:1], 0
	s_waitcnt vmcnt(0)
	v_cvt_f32_u32_e32 v3, v3
	s_branch .LBB18_450
.LBB18_448:
	s_mov_b64 s[0:1], -1
                                        ; implicit-def: $vgpr3
	s_branch .LBB18_453
.LBB18_449:
	s_mov_b64 s[0:1], -1
                                        ; implicit-def: $vgpr3
.LBB18_450:
	s_andn2_b64 vcc, exec, s[0:1]
	s_cbranch_vccnz .LBB18_452
; %bb.451:
	global_load_ushort v3, v[1:2], off
	s_waitcnt vmcnt(0)
	v_cvt_f32_u32_e32 v3, v3
.LBB18_452:
	s_mov_b64 s[0:1], 0
.LBB18_453:
	s_andn2_b64 vcc, exec, s[0:1]
	s_cbranch_vccnz .LBB18_461
; %bb.454:
	global_load_ubyte v4, v[1:2], off
	s_movk_i32 s0, 0x7f
	s_waitcnt vmcnt(0)
	v_cmp_lt_i16_e32 vcc, s0, v4
	s_mov_b64 s[0:1], 0
	s_and_saveexec_b64 s[8:9], vcc
	s_xor_b64 s[8:9], exec, s[8:9]
	s_cbranch_execz .LBB18_475
; %bb.455:
	s_movk_i32 s0, 0x80
	v_cmp_eq_u16_e32 vcc, s0, v4
	s_mov_b64 s[0:1], -1
	s_and_saveexec_b64 s[10:11], vcc
; %bb.456:
	s_xor_b64 s[0:1], exec, -1
; %bb.457:
	s_or_b64 exec, exec, s[10:11]
	s_and_b64 s[0:1], s[0:1], exec
	s_or_saveexec_b64 s[8:9], s[8:9]
	v_mov_b32_e32 v3, 0x7f800001
	s_xor_b64 exec, exec, s[8:9]
	s_cbranch_execnz .LBB18_476
.LBB18_458:
	s_or_b64 exec, exec, s[8:9]
	s_and_saveexec_b64 s[8:9], s[0:1]
	s_cbranch_execz .LBB18_460
.LBB18_459:
	v_lshlrev_b32_e32 v3, 24, v4
	v_and_b32_e32 v4, 0xffff, v4
	v_and_b32_e32 v5, 7, v4
	v_ffbh_u32_e32 v7, v5
	v_min_u32_e32 v7, 32, v7
	v_subrev_u32_e32 v9, 28, v7
	v_bfe_u32 v6, v4, 3, 4
	v_lshlrev_b32_e32 v4, v9, v4
	v_sub_u32_e32 v7, 29, v7
	v_and_b32_e32 v4, 7, v4
	v_cmp_eq_u32_e32 vcc, 0, v6
	v_cndmask_b32_e32 v6, v6, v7, vcc
	v_cndmask_b32_e32 v4, v5, v4, vcc
	v_mov_b32_e32 v5, 0x3b800000
	v_lshlrev_b32_e32 v4, 20, v4
	v_and_b32_e32 v3, 0x80000000, v3
	v_lshl_add_u32 v5, v6, 23, v5
	v_or3_b32 v3, v3, v5, v4
.LBB18_460:
	s_or_b64 exec, exec, s[8:9]
.LBB18_461:
	s_mov_b64 s[0:1], -1
.LBB18_462:
	s_mov_b64 s[8:9], 0
.LBB18_463:
	s_and_b64 vcc, exec, s[8:9]
	s_cbranch_vccz .LBB18_498
; %bb.464:
	s_cmp_gt_i32 s12, 22
	s_cbranch_scc0 .LBB18_474
; %bb.465:
	s_cmp_lt_i32 s12, 24
	s_cbranch_scc1 .LBB18_477
; %bb.466:
	s_cmp_gt_i32 s12, 24
	s_cbranch_scc0 .LBB18_478
; %bb.467:
	global_load_ubyte v4, v[1:2], off
	s_movk_i32 s0, 0x7f
	s_waitcnt vmcnt(0)
	v_cmp_lt_i16_e32 vcc, s0, v4
	s_mov_b64 s[0:1], 0
	s_and_saveexec_b64 s[8:9], vcc
	s_xor_b64 s[8:9], exec, s[8:9]
	s_cbranch_execz .LBB18_490
; %bb.468:
	s_movk_i32 s0, 0x80
	v_cmp_eq_u16_e32 vcc, s0, v4
	s_mov_b64 s[0:1], -1
	s_and_saveexec_b64 s[10:11], vcc
; %bb.469:
	s_xor_b64 s[0:1], exec, -1
; %bb.470:
	s_or_b64 exec, exec, s[10:11]
	s_and_b64 s[0:1], s[0:1], exec
	s_or_saveexec_b64 s[8:9], s[8:9]
	v_mov_b32_e32 v3, 0x7f800001
	s_xor_b64 exec, exec, s[8:9]
	s_cbranch_execnz .LBB18_491
.LBB18_471:
	s_or_b64 exec, exec, s[8:9]
	s_and_saveexec_b64 s[8:9], s[0:1]
	s_cbranch_execz .LBB18_473
.LBB18_472:
	v_lshlrev_b32_e32 v3, 24, v4
	v_and_b32_e32 v4, 0xffff, v4
	v_and_b32_e32 v5, 3, v4
	v_ffbh_u32_e32 v7, v5
	v_min_u32_e32 v7, 32, v7
	v_subrev_u32_e32 v9, 29, v7
	v_bfe_u32 v6, v4, 2, 5
	v_lshlrev_b32_e32 v4, v9, v4
	v_sub_u32_e32 v7, 30, v7
	v_and_b32_e32 v4, 3, v4
	v_cmp_eq_u32_e32 vcc, 0, v6
	v_cndmask_b32_e32 v6, v6, v7, vcc
	v_cndmask_b32_e32 v4, v5, v4, vcc
	v_mov_b32_e32 v5, 0x37800000
	v_lshlrev_b32_e32 v4, 21, v4
	v_and_b32_e32 v3, 0x80000000, v3
	v_lshl_add_u32 v5, v6, 23, v5
	v_or3_b32 v3, v3, v5, v4
.LBB18_473:
	s_or_b64 exec, exec, s[8:9]
	s_mov_b64 s[0:1], 0
	s_branch .LBB18_479
.LBB18_474:
	s_mov_b64 s[8:9], -1
                                        ; implicit-def: $vgpr3
	s_branch .LBB18_485
.LBB18_475:
	s_or_saveexec_b64 s[8:9], s[8:9]
	v_mov_b32_e32 v3, 0x7f800001
	s_xor_b64 exec, exec, s[8:9]
	s_cbranch_execz .LBB18_458
.LBB18_476:
	v_cmp_ne_u16_e32 vcc, 0, v4
	s_andn2_b64 s[0:1], s[0:1], exec
	s_and_b64 s[10:11], vcc, exec
	v_mov_b32_e32 v3, 0
	s_or_b64 s[0:1], s[0:1], s[10:11]
	s_or_b64 exec, exec, s[8:9]
	s_and_saveexec_b64 s[8:9], s[0:1]
	s_cbranch_execnz .LBB18_459
	s_branch .LBB18_460
.LBB18_477:
	s_mov_b64 s[0:1], -1
                                        ; implicit-def: $vgpr3
	s_branch .LBB18_482
.LBB18_478:
	s_mov_b64 s[0:1], -1
                                        ; implicit-def: $vgpr3
.LBB18_479:
	s_and_b64 vcc, exec, s[0:1]
	s_cbranch_vccz .LBB18_481
; %bb.480:
	global_load_ubyte v3, v[1:2], off
	s_mov_b32 s0, 0x7f800000
	s_waitcnt vmcnt(0)
	v_lshlrev_b32_e32 v3, 24, v3
	v_and_b32_e32 v4, 0x7f000000, v3
	v_ffbh_u32_e32 v5, v4
	v_min_u32_e32 v5, 32, v5
	v_sub_u32_e64 v5, v5, 4 clamp
	v_lshlrev_b32_e32 v7, v5, v4
	v_lshlrev_b32_e32 v5, 23, v5
	v_lshrrev_b32_e32 v7, 4, v7
	v_add_u32_e32 v6, 0x1000000, v4
	v_sub_u32_e32 v5, v7, v5
	v_ashrrev_i32_e32 v6, 8, v6
	v_add_u32_e32 v5, 0x3c000000, v5
	v_and_or_b32 v5, v6, s0, v5
	v_cmp_ne_u32_e32 vcc, 0, v4
	v_cndmask_b32_e32 v4, 0, v5, vcc
	s_brev_b32 s0, 1
	v_and_or_b32 v3, v3, s0, v4
.LBB18_481:
	s_mov_b64 s[0:1], 0
.LBB18_482:
	s_andn2_b64 vcc, exec, s[0:1]
	s_cbranch_vccnz .LBB18_484
; %bb.483:
	global_load_ubyte v3, v[1:2], off
	s_movk_i32 s0, 0x7f00
	s_brev_b32 s1, 16
	s_waitcnt vmcnt(0)
	v_lshlrev_b16_e32 v4, 8, v3
	v_lshlrev_b32_e32 v3, 25, v3
	v_lshrrev_b32_e32 v5, 4, v3
	v_and_or_b32 v6, v4, s0, 0.5
	v_or_b32_e32 v5, 0x70000000, v5
	v_add_f32_e32 v6, -0.5, v6
	v_mul_f32_e32 v5, 0x7800000, v5
	v_cmp_gt_u32_e32 vcc, s1, v3
	v_bfe_i32 v4, v4, 0, 16
	v_cndmask_b32_e32 v3, v5, v6, vcc
	s_brev_b32 s0, 1
	v_and_or_b32 v3, v4, s0, v3
.LBB18_484:
	s_mov_b64 s[8:9], 0
	s_mov_b64 s[0:1], -1
.LBB18_485:
	s_andn2_b64 vcc, exec, s[8:9]
	s_cbranch_vccnz .LBB18_498
; %bb.486:
	s_cmp_gt_i32 s12, 14
	s_cbranch_scc0 .LBB18_489
; %bb.487:
	s_cmp_eq_u32 s12, 15
	s_cbranch_scc0 .LBB18_492
; %bb.488:
	global_load_ushort v3, v[1:2], off
	s_mov_b64 s[0:1], -1
	s_mov_b64 s[2:3], 0
	s_waitcnt vmcnt(0)
	v_lshlrev_b32_e32 v3, 16, v3
	s_branch .LBB18_493
.LBB18_489:
	s_mov_b64 s[8:9], -1
                                        ; implicit-def: $vgpr3
	s_branch .LBB18_494
.LBB18_490:
	s_or_saveexec_b64 s[8:9], s[8:9]
	v_mov_b32_e32 v3, 0x7f800001
	s_xor_b64 exec, exec, s[8:9]
	s_cbranch_execz .LBB18_471
.LBB18_491:
	v_cmp_ne_u16_e32 vcc, 0, v4
	s_andn2_b64 s[0:1], s[0:1], exec
	s_and_b64 s[10:11], vcc, exec
	v_mov_b32_e32 v3, 0
	s_or_b64 s[0:1], s[0:1], s[10:11]
	s_or_b64 exec, exec, s[8:9]
	s_and_saveexec_b64 s[8:9], s[0:1]
	s_cbranch_execnz .LBB18_472
	s_branch .LBB18_473
.LBB18_492:
	s_mov_b64 s[2:3], -1
                                        ; implicit-def: $vgpr3
.LBB18_493:
	s_mov_b64 s[8:9], 0
.LBB18_494:
	s_and_b64 vcc, exec, s[8:9]
	s_cbranch_vccz .LBB18_498
; %bb.495:
	s_cmp_eq_u32 s12, 11
	s_cbranch_scc0 .LBB18_497
; %bb.496:
	global_load_ubyte v3, v[1:2], off
	s_mov_b64 s[0:1], -1
	s_mov_b64 s[2:3], 0
	s_waitcnt vmcnt(0)
	v_cmp_ne_u16_e32 vcc, 0, v3
	v_cndmask_b32_e64 v3, 0, 1.0, vcc
	s_branch .LBB18_498
.LBB18_497:
	s_mov_b64 s[2:3], -1
                                        ; implicit-def: $vgpr3
.LBB18_498:
	s_branch .LBB18_297
.LBB18_499:
	s_cmp_lt_i32 s12, 5
	s_cbranch_scc1 .LBB18_504
; %bb.500:
	s_cmp_lt_i32 s12, 8
	s_cbranch_scc1 .LBB18_505
; %bb.501:
	;; [unrolled: 3-line block ×3, first 2 shown]
	s_cmp_gt_i32 s12, 9
	s_cbranch_scc0 .LBB18_507
; %bb.503:
	global_load_dwordx2 v[3:4], v[1:2], off
	s_mov_b64 s[0:1], 0
	s_waitcnt vmcnt(0)
	v_cvt_f32_f64_e32 v3, v[3:4]
	s_branch .LBB18_508
.LBB18_504:
	s_mov_b64 s[0:1], -1
                                        ; implicit-def: $vgpr3
	s_branch .LBB18_526
.LBB18_505:
	s_mov_b64 s[0:1], -1
                                        ; implicit-def: $vgpr3
	s_branch .LBB18_514
.LBB18_506:
	s_mov_b64 s[0:1], -1
                                        ; implicit-def: $vgpr3
	s_branch .LBB18_511
.LBB18_507:
	s_mov_b64 s[0:1], -1
                                        ; implicit-def: $vgpr3
.LBB18_508:
	s_andn2_b64 vcc, exec, s[0:1]
	s_cbranch_vccnz .LBB18_510
; %bb.509:
	global_load_dword v3, v[1:2], off
.LBB18_510:
	s_mov_b64 s[0:1], 0
.LBB18_511:
	s_andn2_b64 vcc, exec, s[0:1]
	s_cbranch_vccnz .LBB18_513
; %bb.512:
	global_load_dword v3, v[1:2], off
	s_waitcnt vmcnt(0)
	v_cvt_f32_f16_e32 v3, v3
.LBB18_513:
	s_mov_b64 s[0:1], 0
.LBB18_514:
	s_andn2_b64 vcc, exec, s[0:1]
	s_cbranch_vccnz .LBB18_525
; %bb.515:
	s_cmp_lt_i32 s12, 6
	s_cbranch_scc1 .LBB18_518
; %bb.516:
	s_cmp_gt_i32 s12, 6
	s_cbranch_scc0 .LBB18_519
; %bb.517:
	global_load_dwordx2 v[3:4], v[1:2], off
	s_mov_b64 s[0:1], 0
	s_waitcnt vmcnt(0)
	v_cvt_f32_f64_e32 v3, v[3:4]
	s_branch .LBB18_520
.LBB18_518:
	s_mov_b64 s[0:1], -1
                                        ; implicit-def: $vgpr3
	s_branch .LBB18_523
.LBB18_519:
	s_mov_b64 s[0:1], -1
                                        ; implicit-def: $vgpr3
.LBB18_520:
	s_andn2_b64 vcc, exec, s[0:1]
	s_cbranch_vccnz .LBB18_522
; %bb.521:
	global_load_dword v3, v[1:2], off
.LBB18_522:
	s_mov_b64 s[0:1], 0
.LBB18_523:
	s_andn2_b64 vcc, exec, s[0:1]
	s_cbranch_vccnz .LBB18_525
; %bb.524:
	global_load_ushort v3, v[1:2], off
	s_waitcnt vmcnt(0)
	v_cvt_f32_f16_e32 v3, v3
.LBB18_525:
	s_mov_b64 s[0:1], 0
.LBB18_526:
	s_andn2_b64 vcc, exec, s[0:1]
	s_cbranch_vccnz .LBB18_546
; %bb.527:
	s_cmp_lt_i32 s12, 2
	s_cbranch_scc1 .LBB18_531
; %bb.528:
	s_cmp_lt_i32 s12, 3
	s_cbranch_scc1 .LBB18_532
; %bb.529:
	s_cmp_gt_i32 s12, 3
	s_cbranch_scc0 .LBB18_533
; %bb.530:
	global_load_dwordx2 v[3:4], v[1:2], off
	s_mov_b64 s[0:1], 0
	s_waitcnt vmcnt(0)
	v_xor_b32_e32 v6, v3, v4
	v_ffbh_i32_e32 v5, v4
	v_ashrrev_i32_e32 v6, 31, v6
	v_add_u32_e32 v5, -1, v5
	v_add_u32_e32 v6, 32, v6
	v_min_u32_e32 v5, v5, v6
	v_lshlrev_b64 v[3:4], v5, v[3:4]
	v_min_u32_e32 v3, 1, v3
	v_or_b32_e32 v3, v4, v3
	v_cvt_f32_i32_e32 v3, v3
	v_sub_u32_e32 v4, 32, v5
	v_ldexp_f32 v3, v3, v4
	s_branch .LBB18_534
.LBB18_531:
	s_mov_b64 s[0:1], -1
                                        ; implicit-def: $vgpr3
	s_branch .LBB18_540
.LBB18_532:
	s_mov_b64 s[0:1], -1
                                        ; implicit-def: $vgpr3
	s_branch .LBB18_537
.LBB18_533:
	s_mov_b64 s[0:1], -1
                                        ; implicit-def: $vgpr3
.LBB18_534:
	s_andn2_b64 vcc, exec, s[0:1]
	s_cbranch_vccnz .LBB18_536
; %bb.535:
	global_load_dword v3, v[1:2], off
	s_waitcnt vmcnt(0)
	v_cvt_f32_i32_e32 v3, v3
.LBB18_536:
	s_mov_b64 s[0:1], 0
.LBB18_537:
	s_andn2_b64 vcc, exec, s[0:1]
	s_cbranch_vccnz .LBB18_539
; %bb.538:
	global_load_sshort v3, v[1:2], off
	s_waitcnt vmcnt(0)
	v_cvt_f32_i32_e32 v3, v3
.LBB18_539:
	s_mov_b64 s[0:1], 0
.LBB18_540:
	s_andn2_b64 vcc, exec, s[0:1]
	s_cbranch_vccnz .LBB18_546
; %bb.541:
	s_cmp_gt_i32 s12, 0
	s_cbranch_scc0 .LBB18_543
; %bb.542:
	global_load_sbyte v3, v[1:2], off
	s_mov_b64 s[0:1], 0
	s_waitcnt vmcnt(0)
	v_cvt_f32_i32_e32 v3, v3
	s_branch .LBB18_544
.LBB18_543:
	s_mov_b64 s[0:1], -1
                                        ; implicit-def: $vgpr3
.LBB18_544:
	s_andn2_b64 vcc, exec, s[0:1]
	s_cbranch_vccnz .LBB18_546
; %bb.545:
	global_load_ubyte v1, v[1:2], off
	s_waitcnt vmcnt(0)
	v_cvt_f32_ubyte0_e32 v3, v1
.LBB18_546:
	s_branch .LBB18_298
.LBB18_547:
	s_mov_b64 s[8:9], 0
	s_mov_b64 s[0:1], s[52:53]
.LBB18_548:
                                        ; implicit-def: $vgpr8
.LBB18_549:
	s_andn2_b64 s[10:11], s[52:53], exec
	s_and_b64 s[0:1], s[0:1], exec
	s_or_b64 s[60:61], s[10:11], s[0:1]
	s_andn2_b64 s[0:1], s[54:55], exec
	s_and_b64 s[2:3], s[2:3], exec
	s_or_b64 s[58:59], s[0:1], s[2:3]
	s_orn2_b64 s[0:1], s[8:9], exec
.LBB18_550:
	s_or_b64 exec, exec, s[62:63]
	s_mov_b64 s[2:3], 0
	s_mov_b64 s[8:9], 0
	;; [unrolled: 1-line block ×3, first 2 shown]
                                        ; implicit-def: $vgpr1_vgpr2
                                        ; implicit-def: $vgpr0
                                        ; implicit-def: $vgpr5
	s_and_saveexec_b64 s[62:63], s[0:1]
	s_cbranch_execz .LBB18_929
; %bb.551:
	v_cmp_gt_i32_e32 vcc, s70, v8
	s_mov_b64 s[2:3], -1
	s_mov_b64 s[66:67], s[58:59]
	s_mov_b64 s[68:69], s[60:61]
	s_and_saveexec_b64 s[64:65], vcc
	s_cbranch_execz .LBB18_829
; %bb.552:
	s_andn2_b64 vcc, exec, s[40:41]
	s_cbranch_vccnz .LBB18_557
; %bb.553:
	s_andn2_b64 vcc, exec, s[50:51]
	s_cbranch_vccnz .LBB18_558
; %bb.554:
	s_add_i32 s76, s75, 1
	s_cmp_eq_u32 s72, 2
	s_cbranch_scc1 .LBB18_559
; %bb.555:
	s_and_b32 s71, s76, 28
	v_mov_b32_e32 v2, 0
	s_mov_b32 s77, 0
	s_mov_b64 s[66:67], s[34:35]
	s_mov_b64 s[68:69], s[48:49]
	v_mov_b32_e32 v0, 0
	v_mov_b32_e32 v1, v8
.LBB18_556:                             ; =>This Inner Loop Header: Depth=1
	s_load_dwordx8 s[16:23], s[66:67], 0x4
	s_load_dwordx4 s[0:3], s[66:67], 0x24
	s_load_dwordx8 s[8:15], s[68:69], 0x0
	s_add_u32 s66, s66, 48
	s_addc_u32 s67, s67, 0
	s_waitcnt vmcnt(0) lgkmcnt(0)
	v_mul_hi_u32 v3, s17, v1
	s_add_i32 s77, s77, 4
	s_add_u32 s68, s68, 32
	s_addc_u32 s69, s69, 0
	v_add_u32_e32 v3, v1, v3
	v_lshrrev_b32_e32 v3, s18, v3
	v_mul_lo_u32 v4, v3, s16
	v_mul_hi_u32 v5, s20, v3
	s_cmp_eq_u32 s71, s77
	v_sub_u32_e32 v1, v1, v4
	v_add_u32_e32 v4, v3, v5
	v_mul_lo_u32 v5, v1, s8
	v_mul_lo_u32 v6, v1, s9
	v_lshrrev_b32_e32 v1, s21, v4
	v_mul_lo_u32 v4, v1, s19
	v_mul_hi_u32 v7, s23, v1
	v_sub_u32_e32 v3, v3, v4
	v_add_u32_e32 v4, v1, v7
	v_lshrrev_b32_e32 v4, s0, v4
	v_mul_hi_u32 v9, s2, v4
	v_mul_lo_u32 v10, v4, s22
	v_mul_lo_u32 v7, v3, s10
	;; [unrolled: 1-line block ×3, first 2 shown]
	v_sub_u32_e32 v10, v1, v10
	v_add_u32_e32 v1, v4, v9
	v_lshrrev_b32_e32 v1, s3, v1
	v_mul_lo_u32 v9, v1, s1
	v_mul_lo_u32 v11, v10, s12
	;; [unrolled: 1-line block ×3, first 2 shown]
	v_add3_u32 v0, v5, v0, v7
	v_sub_u32_e32 v4, v4, v9
	v_mul_lo_u32 v9, v4, s14
	v_mul_lo_u32 v4, v4, s15
	v_add3_u32 v2, v6, v2, v3
	v_add3_u32 v0, v11, v0, v9
	v_add3_u32 v2, v10, v2, v4
	s_cbranch_scc0 .LBB18_556
	s_branch .LBB18_560
.LBB18_557:
	s_mov_b64 s[0:1], -1
                                        ; implicit-def: $vgpr0
                                        ; implicit-def: $vgpr2
	s_branch .LBB18_564
.LBB18_558:
	v_mov_b32_e32 v0, 0
	v_mov_b32_e32 v2, 0
	s_branch .LBB18_563
.LBB18_559:
	s_mov_b32 s71, 0
	v_mov_b32_e32 v0, 0
	v_mov_b32_e32 v2, 0
	;; [unrolled: 1-line block ×3, first 2 shown]
.LBB18_560:
	s_and_b32 s8, s76, 3
	s_cmp_eq_u32 s8, 0
	s_cbranch_scc1 .LBB18_563
; %bb.561:
	s_lshl_b32 s0, s71, 3
	s_add_u32 s0, s34, s0
	s_addc_u32 s1, s35, 0
	s_add_u32 s0, s0, 0xc4
	s_addc_u32 s1, s1, 0
	s_mul_i32 s2, s71, 12
	s_add_u32 s2, s34, s2
	s_addc_u32 s3, s35, 0
.LBB18_562:                             ; =>This Inner Loop Header: Depth=1
	s_load_dwordx2 s[10:11], s[2:3], 0x4
	s_load_dword s9, s[2:3], 0xc
	s_load_dwordx2 s[12:13], s[0:1], 0x0
	s_add_u32 s2, s2, 12
	s_addc_u32 s3, s3, 0
	s_waitcnt vmcnt(0) lgkmcnt(0)
	v_mul_hi_u32 v3, s11, v1
	s_add_u32 s0, s0, 8
	s_addc_u32 s1, s1, 0
	s_add_i32 s8, s8, -1
	v_add_u32_e32 v3, v1, v3
	v_lshrrev_b32_e32 v4, s9, v3
	v_mul_lo_u32 v3, v4, s10
	s_cmp_lg_u32 s8, 0
	v_sub_u32_e32 v3, v1, v3
	v_mad_u64_u32 v[0:1], s[10:11], v3, s12, v[0:1]
	v_mad_u64_u32 v[2:3], s[10:11], v3, s13, v[2:3]
	v_mov_b32_e32 v1, v4
	s_cbranch_scc1 .LBB18_562
.LBB18_563:
	s_mov_b64 s[0:1], 0
.LBB18_564:
	s_andn2_b64 vcc, exec, s[0:1]
	s_cbranch_vccnz .LBB18_567
; %bb.565:
	s_waitcnt lgkmcnt(0)
	v_mul_hi_u32 v0, s37, v8
	s_andn2_b64 vcc, exec, s[46:47]
	v_add_u32_e32 v0, v8, v0
	v_lshrrev_b32_e32 v1, s38, v0
	v_mul_lo_u32 v0, v1, s36
	v_sub_u32_e32 v2, v8, v0
	v_mul_lo_u32 v0, v2, s28
	v_mul_lo_u32 v2, v2, s29
	s_cbranch_vccnz .LBB18_567
; %bb.566:
	s_waitcnt vmcnt(0)
	v_mul_hi_u32 v3, s44, v1
	v_add_u32_e32 v3, v1, v3
	v_lshrrev_b32_e32 v3, s45, v3
	v_mul_lo_u32 v3, v3, s39
	v_sub_u32_e32 v3, v1, v3
	v_mad_u64_u32 v[0:1], s[0:1], v3, s30, v[0:1]
	v_mad_u64_u32 v[2:3], s[0:1], v3, s31, v[2:3]
.LBB18_567:
	s_waitcnt vmcnt(0) lgkmcnt(0)
	v_mov_b32_e32 v3, s27
	s_and_b32 s12, 0xffff, s74
	v_add_co_u32_e32 v1, vcc, s26, v2
	s_cmp_lt_i32 s12, 11
	v_addc_co_u32_e32 v2, vcc, 0, v3, vcc
	s_cbranch_scc1 .LBB18_574
; %bb.568:
	s_cmp_gt_i32 s12, 25
	s_cbranch_scc0 .LBB18_575
; %bb.569:
	s_cmp_gt_i32 s12, 28
	s_cbranch_scc0 .LBB18_576
	;; [unrolled: 3-line block ×4, first 2 shown]
; %bb.572:
	s_cmp_eq_u32 s12, 46
	s_mov_b64 s[8:9], 0
	s_cbranch_scc0 .LBB18_583
; %bb.573:
	global_load_dword v3, v[1:2], off
	s_mov_b64 s[0:1], -1
	s_mov_b64 s[2:3], 0
	s_waitcnt vmcnt(0)
	v_lshlrev_b32_e32 v3, 16, v3
	s_branch .LBB18_584
.LBB18_574:
	s_mov_b64 s[8:9], -1
	s_mov_b64 s[0:1], 0
                                        ; implicit-def: $vgpr3
	s_mov_b64 s[2:3], s[58:59]
	s_branch .LBB18_649
.LBB18_575:
	s_mov_b64 s[8:9], -1
	s_mov_b64 s[0:1], 0
	s_mov_b64 s[2:3], s[58:59]
                                        ; implicit-def: $vgpr3
	s_branch .LBB18_613
.LBB18_576:
	s_mov_b64 s[8:9], -1
	s_mov_b64 s[0:1], 0
	s_mov_b64 s[2:3], s[58:59]
                                        ; implicit-def: $vgpr3
	s_branch .LBB18_594
.LBB18_577:
	s_mov_b64 s[8:9], -1
	s_mov_b64 s[0:1], 0
	s_mov_b64 s[2:3], s[58:59]
                                        ; implicit-def: $vgpr3
	s_branch .LBB18_589
.LBB18_578:
	s_andn2_saveexec_b64 s[12:13], s[12:13]
	s_cbranch_execz .LBB18_347
.LBB18_579:
	s_mov_b32 s16, 0x46000000
	v_add_f32_e64 v0, |v1|, s16
	v_and_b32_e32 v0, 0xff, v0
	v_cmp_ne_u32_e32 vcc, 0, v0
	s_andn2_b64 s[10:11], s[10:11], exec
	s_and_b64 s[16:17], vcc, exec
	s_or_b64 s[10:11], s[10:11], s[16:17]
	s_or_b64 exec, exec, s[12:13]
	v_mov_b32_e32 v2, 0
	s_and_saveexec_b64 s[12:13], s[10:11]
	s_cbranch_execnz .LBB18_348
	s_branch .LBB18_349
.LBB18_580:
	s_mov_b64 s[8:9], -1
	s_mov_b64 s[0:1], 0
	s_mov_b64 s[2:3], s[58:59]
                                        ; implicit-def: $vgpr3
	s_branch .LBB18_584
.LBB18_581:
	s_andn2_saveexec_b64 s[12:13], s[12:13]
	s_cbranch_execz .LBB18_360
.LBB18_582:
	s_mov_b32 s16, 0x42800000
	v_add_f32_e64 v0, |v1|, s16
	v_and_b32_e32 v0, 0xff, v0
	v_cmp_ne_u32_e32 vcc, 0, v0
	s_andn2_b64 s[10:11], s[10:11], exec
	s_and_b64 s[16:17], vcc, exec
	s_or_b64 s[10:11], s[10:11], s[16:17]
	s_or_b64 exec, exec, s[12:13]
	v_mov_b32_e32 v2, 0
	s_and_saveexec_b64 s[12:13], s[10:11]
	s_cbranch_execnz .LBB18_361
	s_branch .LBB18_362
.LBB18_583:
	s_mov_b64 s[2:3], -1
                                        ; implicit-def: $vgpr3
	s_mov_b64 s[0:1], 0
.LBB18_584:
	s_and_b64 vcc, exec, s[8:9]
	s_cbranch_vccz .LBB18_588
; %bb.585:
	s_cmp_eq_u32 s12, 44
	s_cbranch_scc0 .LBB18_587
; %bb.586:
	global_load_ubyte v3, v[1:2], off
	s_movk_i32 s2, 0xff
	v_mov_b32_e32 v4, 0x7f800001
	v_mov_b32_e32 v5, 0x400000
	s_mov_b64 s[0:1], -1
	s_waitcnt vmcnt(0)
	v_lshlrev_b32_e32 v6, 23, v3
	v_cmp_ne_u32_e32 vcc, s2, v3
	v_cndmask_b32_e32 v4, v4, v6, vcc
	v_cmp_ne_u32_e32 vcc, 0, v3
	v_cndmask_b32_e32 v3, v5, v4, vcc
	s_mov_b64 s[2:3], 0
	s_branch .LBB18_588
.LBB18_587:
	s_mov_b64 s[2:3], -1
                                        ; implicit-def: $vgpr3
.LBB18_588:
	s_mov_b64 s[8:9], 0
.LBB18_589:
	s_and_b64 vcc, exec, s[8:9]
	s_cbranch_vccz .LBB18_593
; %bb.590:
	s_cmp_eq_u32 s12, 29
	s_cbranch_scc0 .LBB18_592
; %bb.591:
	global_load_dwordx2 v[3:4], v[1:2], off
	s_mov_b64 s[0:1], -1
	s_mov_b64 s[2:3], 0
	s_mov_b64 s[8:9], 0
	s_waitcnt vmcnt(0)
	v_ffbh_u32_e32 v5, v4
	v_min_u32_e32 v5, 32, v5
	v_lshlrev_b64 v[3:4], v5, v[3:4]
	v_min_u32_e32 v3, 1, v3
	v_or_b32_e32 v3, v4, v3
	v_cvt_f32_u32_e32 v3, v3
	v_sub_u32_e32 v4, 32, v5
	v_ldexp_f32 v3, v3, v4
	s_branch .LBB18_594
.LBB18_592:
	s_mov_b64 s[2:3], -1
                                        ; implicit-def: $vgpr3
.LBB18_593:
	s_mov_b64 s[8:9], 0
.LBB18_594:
	s_and_b64 vcc, exec, s[8:9]
	s_cbranch_vccz .LBB18_612
; %bb.595:
	s_cmp_lt_i32 s12, 27
	s_cbranch_scc1 .LBB18_598
; %bb.596:
	s_cmp_gt_i32 s12, 27
	s_cbranch_scc0 .LBB18_599
; %bb.597:
	global_load_dword v3, v[1:2], off
	s_mov_b64 s[0:1], 0
	s_waitcnt vmcnt(0)
	v_cvt_f32_u32_e32 v3, v3
	s_branch .LBB18_600
.LBB18_598:
	s_mov_b64 s[0:1], -1
                                        ; implicit-def: $vgpr3
	s_branch .LBB18_603
.LBB18_599:
	s_mov_b64 s[0:1], -1
                                        ; implicit-def: $vgpr3
.LBB18_600:
	s_andn2_b64 vcc, exec, s[0:1]
	s_cbranch_vccnz .LBB18_602
; %bb.601:
	global_load_ushort v3, v[1:2], off
	s_waitcnt vmcnt(0)
	v_cvt_f32_u32_e32 v3, v3
.LBB18_602:
	s_mov_b64 s[0:1], 0
.LBB18_603:
	s_andn2_b64 vcc, exec, s[0:1]
	s_cbranch_vccnz .LBB18_611
; %bb.604:
	global_load_ubyte v4, v[1:2], off
	s_movk_i32 s0, 0x7f
	s_waitcnt vmcnt(0)
	v_cmp_lt_i16_e32 vcc, s0, v4
	s_mov_b64 s[0:1], 0
	s_and_saveexec_b64 s[8:9], vcc
	s_xor_b64 s[8:9], exec, s[8:9]
	s_cbranch_execz .LBB18_625
; %bb.605:
	s_movk_i32 s0, 0x80
	v_cmp_eq_u16_e32 vcc, s0, v4
	s_mov_b64 s[0:1], -1
	s_and_saveexec_b64 s[10:11], vcc
; %bb.606:
	s_xor_b64 s[0:1], exec, -1
; %bb.607:
	s_or_b64 exec, exec, s[10:11]
	s_and_b64 s[0:1], s[0:1], exec
	s_or_saveexec_b64 s[8:9], s[8:9]
	v_mov_b32_e32 v3, 0x7f800001
	s_xor_b64 exec, exec, s[8:9]
	s_cbranch_execnz .LBB18_626
.LBB18_608:
	s_or_b64 exec, exec, s[8:9]
	s_and_saveexec_b64 s[8:9], s[0:1]
	s_cbranch_execz .LBB18_610
.LBB18_609:
	v_lshlrev_b32_e32 v3, 24, v4
	v_and_b32_e32 v4, 0xffff, v4
	v_and_b32_e32 v5, 7, v4
	v_ffbh_u32_e32 v7, v5
	v_min_u32_e32 v7, 32, v7
	v_subrev_u32_e32 v9, 28, v7
	v_bfe_u32 v6, v4, 3, 4
	v_lshlrev_b32_e32 v4, v9, v4
	v_sub_u32_e32 v7, 29, v7
	v_and_b32_e32 v4, 7, v4
	v_cmp_eq_u32_e32 vcc, 0, v6
	v_cndmask_b32_e32 v6, v6, v7, vcc
	v_cndmask_b32_e32 v4, v5, v4, vcc
	v_mov_b32_e32 v5, 0x3b800000
	v_lshlrev_b32_e32 v4, 20, v4
	v_and_b32_e32 v3, 0x80000000, v3
	v_lshl_add_u32 v5, v6, 23, v5
	v_or3_b32 v3, v3, v5, v4
.LBB18_610:
	s_or_b64 exec, exec, s[8:9]
.LBB18_611:
	s_mov_b64 s[0:1], -1
.LBB18_612:
	s_mov_b64 s[8:9], 0
.LBB18_613:
	s_and_b64 vcc, exec, s[8:9]
	s_cbranch_vccz .LBB18_648
; %bb.614:
	s_cmp_gt_i32 s12, 22
	s_cbranch_scc0 .LBB18_624
; %bb.615:
	s_cmp_lt_i32 s12, 24
	s_cbranch_scc1 .LBB18_627
; %bb.616:
	s_cmp_gt_i32 s12, 24
	s_cbranch_scc0 .LBB18_628
; %bb.617:
	global_load_ubyte v4, v[1:2], off
	s_movk_i32 s0, 0x7f
	s_waitcnt vmcnt(0)
	v_cmp_lt_i16_e32 vcc, s0, v4
	s_mov_b64 s[0:1], 0
	s_and_saveexec_b64 s[8:9], vcc
	s_xor_b64 s[8:9], exec, s[8:9]
	s_cbranch_execz .LBB18_640
; %bb.618:
	s_movk_i32 s0, 0x80
	v_cmp_eq_u16_e32 vcc, s0, v4
	s_mov_b64 s[0:1], -1
	s_and_saveexec_b64 s[10:11], vcc
; %bb.619:
	s_xor_b64 s[0:1], exec, -1
; %bb.620:
	s_or_b64 exec, exec, s[10:11]
	s_and_b64 s[0:1], s[0:1], exec
	s_or_saveexec_b64 s[8:9], s[8:9]
	v_mov_b32_e32 v3, 0x7f800001
	s_xor_b64 exec, exec, s[8:9]
	s_cbranch_execnz .LBB18_641
.LBB18_621:
	s_or_b64 exec, exec, s[8:9]
	s_and_saveexec_b64 s[8:9], s[0:1]
	s_cbranch_execz .LBB18_623
.LBB18_622:
	v_lshlrev_b32_e32 v3, 24, v4
	v_and_b32_e32 v4, 0xffff, v4
	v_and_b32_e32 v5, 3, v4
	v_ffbh_u32_e32 v7, v5
	v_min_u32_e32 v7, 32, v7
	v_subrev_u32_e32 v9, 29, v7
	v_bfe_u32 v6, v4, 2, 5
	v_lshlrev_b32_e32 v4, v9, v4
	v_sub_u32_e32 v7, 30, v7
	v_and_b32_e32 v4, 3, v4
	v_cmp_eq_u32_e32 vcc, 0, v6
	v_cndmask_b32_e32 v6, v6, v7, vcc
	v_cndmask_b32_e32 v4, v5, v4, vcc
	v_mov_b32_e32 v5, 0x37800000
	v_lshlrev_b32_e32 v4, 21, v4
	v_and_b32_e32 v3, 0x80000000, v3
	v_lshl_add_u32 v5, v6, 23, v5
	v_or3_b32 v3, v3, v5, v4
.LBB18_623:
	s_or_b64 exec, exec, s[8:9]
	s_mov_b64 s[0:1], 0
	s_branch .LBB18_629
.LBB18_624:
	s_mov_b64 s[8:9], -1
                                        ; implicit-def: $vgpr3
	s_branch .LBB18_635
.LBB18_625:
	s_or_saveexec_b64 s[8:9], s[8:9]
	v_mov_b32_e32 v3, 0x7f800001
	s_xor_b64 exec, exec, s[8:9]
	s_cbranch_execz .LBB18_608
.LBB18_626:
	v_cmp_ne_u16_e32 vcc, 0, v4
	s_andn2_b64 s[0:1], s[0:1], exec
	s_and_b64 s[10:11], vcc, exec
	v_mov_b32_e32 v3, 0
	s_or_b64 s[0:1], s[0:1], s[10:11]
	s_or_b64 exec, exec, s[8:9]
	s_and_saveexec_b64 s[8:9], s[0:1]
	s_cbranch_execnz .LBB18_609
	s_branch .LBB18_610
.LBB18_627:
	s_mov_b64 s[0:1], -1
                                        ; implicit-def: $vgpr3
	s_branch .LBB18_632
.LBB18_628:
	s_mov_b64 s[0:1], -1
                                        ; implicit-def: $vgpr3
.LBB18_629:
	s_and_b64 vcc, exec, s[0:1]
	s_cbranch_vccz .LBB18_631
; %bb.630:
	global_load_ubyte v3, v[1:2], off
	s_mov_b32 s0, 0x7f800000
	s_waitcnt vmcnt(0)
	v_lshlrev_b32_e32 v3, 24, v3
	v_and_b32_e32 v4, 0x7f000000, v3
	v_ffbh_u32_e32 v5, v4
	v_min_u32_e32 v5, 32, v5
	v_sub_u32_e64 v5, v5, 4 clamp
	v_lshlrev_b32_e32 v7, v5, v4
	v_lshlrev_b32_e32 v5, 23, v5
	v_lshrrev_b32_e32 v7, 4, v7
	v_add_u32_e32 v6, 0x1000000, v4
	v_sub_u32_e32 v5, v7, v5
	v_ashrrev_i32_e32 v6, 8, v6
	v_add_u32_e32 v5, 0x3c000000, v5
	v_and_or_b32 v5, v6, s0, v5
	v_cmp_ne_u32_e32 vcc, 0, v4
	v_cndmask_b32_e32 v4, 0, v5, vcc
	s_brev_b32 s0, 1
	v_and_or_b32 v3, v3, s0, v4
.LBB18_631:
	s_mov_b64 s[0:1], 0
.LBB18_632:
	s_andn2_b64 vcc, exec, s[0:1]
	s_cbranch_vccnz .LBB18_634
; %bb.633:
	global_load_ubyte v3, v[1:2], off
	s_movk_i32 s0, 0x7f00
	s_brev_b32 s1, 16
	s_waitcnt vmcnt(0)
	v_lshlrev_b16_e32 v4, 8, v3
	v_lshlrev_b32_e32 v3, 25, v3
	v_lshrrev_b32_e32 v5, 4, v3
	v_and_or_b32 v6, v4, s0, 0.5
	v_or_b32_e32 v5, 0x70000000, v5
	v_add_f32_e32 v6, -0.5, v6
	v_mul_f32_e32 v5, 0x7800000, v5
	v_cmp_gt_u32_e32 vcc, s1, v3
	v_bfe_i32 v4, v4, 0, 16
	v_cndmask_b32_e32 v3, v5, v6, vcc
	s_brev_b32 s0, 1
	v_and_or_b32 v3, v4, s0, v3
.LBB18_634:
	s_mov_b64 s[8:9], 0
	s_mov_b64 s[0:1], -1
.LBB18_635:
	s_andn2_b64 vcc, exec, s[8:9]
	s_cbranch_vccnz .LBB18_648
; %bb.636:
	s_cmp_gt_i32 s12, 14
	s_cbranch_scc0 .LBB18_639
; %bb.637:
	s_cmp_eq_u32 s12, 15
	s_cbranch_scc0 .LBB18_642
; %bb.638:
	global_load_ushort v3, v[1:2], off
	s_mov_b64 s[0:1], -1
	s_mov_b64 s[2:3], 0
	s_waitcnt vmcnt(0)
	v_lshlrev_b32_e32 v3, 16, v3
	s_branch .LBB18_643
.LBB18_639:
	s_mov_b64 s[8:9], -1
                                        ; implicit-def: $vgpr3
	s_branch .LBB18_644
.LBB18_640:
	s_or_saveexec_b64 s[8:9], s[8:9]
	v_mov_b32_e32 v3, 0x7f800001
	s_xor_b64 exec, exec, s[8:9]
	s_cbranch_execz .LBB18_621
.LBB18_641:
	v_cmp_ne_u16_e32 vcc, 0, v4
	s_andn2_b64 s[0:1], s[0:1], exec
	s_and_b64 s[10:11], vcc, exec
	v_mov_b32_e32 v3, 0
	s_or_b64 s[0:1], s[0:1], s[10:11]
	s_or_b64 exec, exec, s[8:9]
	s_and_saveexec_b64 s[8:9], s[0:1]
	s_cbranch_execnz .LBB18_622
	s_branch .LBB18_623
.LBB18_642:
	s_mov_b64 s[2:3], -1
                                        ; implicit-def: $vgpr3
.LBB18_643:
	s_mov_b64 s[8:9], 0
.LBB18_644:
	s_and_b64 vcc, exec, s[8:9]
	s_cbranch_vccz .LBB18_648
; %bb.645:
	s_cmp_eq_u32 s12, 11
	s_cbranch_scc0 .LBB18_647
; %bb.646:
	global_load_ubyte v3, v[1:2], off
	s_mov_b64 s[0:1], -1
	s_mov_b64 s[2:3], 0
	s_waitcnt vmcnt(0)
	v_cmp_ne_u16_e32 vcc, 0, v3
	v_cndmask_b32_e64 v3, 0, 1.0, vcc
	s_branch .LBB18_648
.LBB18_647:
	s_mov_b64 s[2:3], -1
                                        ; implicit-def: $vgpr3
.LBB18_648:
	s_mov_b64 s[8:9], 0
.LBB18_649:
	s_and_b64 vcc, exec, s[8:9]
	s_cbranch_vccz .LBB18_698
; %bb.650:
	s_cmp_lt_i32 s12, 5
	s_cbranch_scc1 .LBB18_655
; %bb.651:
	s_cmp_lt_i32 s12, 8
	s_cbranch_scc1 .LBB18_656
	;; [unrolled: 3-line block ×3, first 2 shown]
; %bb.653:
	s_cmp_gt_i32 s12, 9
	s_cbranch_scc0 .LBB18_658
; %bb.654:
	global_load_dwordx2 v[3:4], v[1:2], off
	s_mov_b64 s[0:1], 0
	s_waitcnt vmcnt(0)
	v_cvt_f32_f64_e32 v3, v[3:4]
	s_branch .LBB18_659
.LBB18_655:
	s_mov_b64 s[0:1], -1
                                        ; implicit-def: $vgpr3
	s_branch .LBB18_677
.LBB18_656:
	s_mov_b64 s[0:1], -1
                                        ; implicit-def: $vgpr3
	s_branch .LBB18_665
.LBB18_657:
	s_mov_b64 s[0:1], -1
                                        ; implicit-def: $vgpr3
	s_branch .LBB18_662
.LBB18_658:
	s_mov_b64 s[0:1], -1
                                        ; implicit-def: $vgpr3
.LBB18_659:
	s_andn2_b64 vcc, exec, s[0:1]
	s_cbranch_vccnz .LBB18_661
; %bb.660:
	global_load_dword v3, v[1:2], off
.LBB18_661:
	s_mov_b64 s[0:1], 0
.LBB18_662:
	s_andn2_b64 vcc, exec, s[0:1]
	s_cbranch_vccnz .LBB18_664
; %bb.663:
	global_load_dword v3, v[1:2], off
	s_waitcnt vmcnt(0)
	v_cvt_f32_f16_e32 v3, v3
.LBB18_664:
	s_mov_b64 s[0:1], 0
.LBB18_665:
	s_andn2_b64 vcc, exec, s[0:1]
	s_cbranch_vccnz .LBB18_676
; %bb.666:
	s_cmp_lt_i32 s12, 6
	s_cbranch_scc1 .LBB18_669
; %bb.667:
	s_cmp_gt_i32 s12, 6
	s_cbranch_scc0 .LBB18_670
; %bb.668:
	global_load_dwordx2 v[3:4], v[1:2], off
	s_mov_b64 s[0:1], 0
	s_waitcnt vmcnt(0)
	v_cvt_f32_f64_e32 v3, v[3:4]
	s_branch .LBB18_671
.LBB18_669:
	s_mov_b64 s[0:1], -1
                                        ; implicit-def: $vgpr3
	s_branch .LBB18_674
.LBB18_670:
	s_mov_b64 s[0:1], -1
                                        ; implicit-def: $vgpr3
.LBB18_671:
	s_andn2_b64 vcc, exec, s[0:1]
	s_cbranch_vccnz .LBB18_673
; %bb.672:
	global_load_dword v3, v[1:2], off
.LBB18_673:
	s_mov_b64 s[0:1], 0
.LBB18_674:
	s_andn2_b64 vcc, exec, s[0:1]
	s_cbranch_vccnz .LBB18_676
; %bb.675:
	global_load_ushort v3, v[1:2], off
	s_waitcnt vmcnt(0)
	v_cvt_f32_f16_e32 v3, v3
.LBB18_676:
	s_mov_b64 s[0:1], 0
.LBB18_677:
	s_andn2_b64 vcc, exec, s[0:1]
	s_cbranch_vccnz .LBB18_697
; %bb.678:
	s_cmp_lt_i32 s12, 2
	s_cbranch_scc1 .LBB18_682
; %bb.679:
	s_cmp_lt_i32 s12, 3
	s_cbranch_scc1 .LBB18_683
; %bb.680:
	s_cmp_gt_i32 s12, 3
	s_cbranch_scc0 .LBB18_684
; %bb.681:
	global_load_dwordx2 v[3:4], v[1:2], off
	s_mov_b64 s[0:1], 0
	s_waitcnt vmcnt(0)
	v_xor_b32_e32 v6, v3, v4
	v_ffbh_i32_e32 v5, v4
	v_ashrrev_i32_e32 v6, 31, v6
	v_add_u32_e32 v5, -1, v5
	v_add_u32_e32 v6, 32, v6
	v_min_u32_e32 v5, v5, v6
	v_lshlrev_b64 v[3:4], v5, v[3:4]
	v_min_u32_e32 v3, 1, v3
	v_or_b32_e32 v3, v4, v3
	v_cvt_f32_i32_e32 v3, v3
	v_sub_u32_e32 v4, 32, v5
	v_ldexp_f32 v3, v3, v4
	s_branch .LBB18_685
.LBB18_682:
	s_mov_b64 s[0:1], -1
                                        ; implicit-def: $vgpr3
	s_branch .LBB18_691
.LBB18_683:
	s_mov_b64 s[0:1], -1
                                        ; implicit-def: $vgpr3
	s_branch .LBB18_688
.LBB18_684:
	s_mov_b64 s[0:1], -1
                                        ; implicit-def: $vgpr3
.LBB18_685:
	s_andn2_b64 vcc, exec, s[0:1]
	s_cbranch_vccnz .LBB18_687
; %bb.686:
	global_load_dword v3, v[1:2], off
	s_waitcnt vmcnt(0)
	v_cvt_f32_i32_e32 v3, v3
.LBB18_687:
	s_mov_b64 s[0:1], 0
.LBB18_688:
	s_andn2_b64 vcc, exec, s[0:1]
	s_cbranch_vccnz .LBB18_690
; %bb.689:
	global_load_sshort v3, v[1:2], off
	s_waitcnt vmcnt(0)
	v_cvt_f32_i32_e32 v3, v3
.LBB18_690:
	s_mov_b64 s[0:1], 0
.LBB18_691:
	s_andn2_b64 vcc, exec, s[0:1]
	s_cbranch_vccnz .LBB18_697
; %bb.692:
	s_cmp_gt_i32 s12, 0
	s_cbranch_scc0 .LBB18_694
; %bb.693:
	global_load_sbyte v3, v[1:2], off
	s_mov_b64 s[0:1], 0
	s_waitcnt vmcnt(0)
	v_cvt_f32_i32_e32 v3, v3
	s_branch .LBB18_695
.LBB18_694:
	s_mov_b64 s[0:1], -1
                                        ; implicit-def: $vgpr3
.LBB18_695:
	s_andn2_b64 vcc, exec, s[0:1]
	s_cbranch_vccnz .LBB18_697
; %bb.696:
	global_load_ubyte v1, v[1:2], off
	s_waitcnt vmcnt(0)
	v_cvt_f32_ubyte0_e32 v3, v1
.LBB18_697:
	s_mov_b64 s[0:1], -1
.LBB18_698:
	s_andn2_b64 vcc, exec, s[0:1]
	s_cbranch_vccnz .LBB18_710
; %bb.699:
	s_mov_b32 s0, 0x41000000
	s_waitcnt vmcnt(0)
	v_cmp_le_f32_e64 s[0:1], |v3|, s0
                                        ; implicit-def: $vgpr1
	s_and_saveexec_b64 s[8:9], s[0:1]
	s_xor_b64 s[0:1], exec, s[8:9]
	s_cbranch_execz .LBB18_701
; %bb.700:
	v_fma_f32 v1, |v3|, 0.5, -2.0
	v_mov_b32_e32 v2, 0x24199b15
	v_fmac_f32_e32 v2, 0xa2a2e5b9, v1
	v_mov_b32_e32 v4, 0x22a2e5b9
	v_fmac_f32_e32 v4, v1, v2
	v_add_f32_e32 v4, 0xa58c275c, v4
	v_fma_f32 v2, v1, v4, -v2
	v_add_f32_e32 v2, 0x26f736c5, v2
	v_fma_f32 v4, v1, v2, -v4
	;; [unrolled: 2-line block ×22, first 2 shown]
	v_add_f32_e32 v4, 0xbcc274f8, v4
	s_mov_b32 s8, 0x3fb8aa3b
	v_fma_f32 v2, v1, v4, -v2
	v_mul_f32_e64 v5, |v3|, s8
	v_add_f32_e32 v2, 0x3d49f456, v2
	v_rndne_f32_e32 v6, v5
	v_fma_f32 v4, v1, v2, -v4
	v_sub_f32_e32 v7, v5, v6
	v_fma_f32 v5, |v3|, s8, -v5
	s_mov_b32 s8, 0x32a5705f
	v_add_f32_e32 v4, 0xbdc25b82, v4
	v_fma_f32 v5, |v3|, s8, v5
	v_fma_f32 v2, v1, v4, -v2
	v_add_f32_e32 v5, v7, v5
	v_add_f32_e32 v2, 0x3e2fbd64, v2
	v_exp_f32_e32 v5, v5
	v_cvt_i32_f32_e32 v6, v6
	v_fma_f32 v4, v1, v2, -v4
	v_add_f32_e32 v4, 0xbe9bff5e, v4
	v_fma_f32 v1, v1, v4, -v2
	s_mov_b32 s8, 0xc2ce8ed0
	v_add_f32_e32 v1, 0x3f2d4275, v1
	v_ldexp_f32 v4, v5, v6
	v_cmp_nlt_f32_e64 vcc, |v3|, s8
	s_mov_b32 s8, 0x42b17218
	v_cndmask_b32_e32 v4, 0, v4, vcc
	v_mov_b32_e32 v5, 0x7f800000
	v_cmp_ngt_f32_e64 vcc, |v3|, s8
	v_sub_f32_e32 v1, v1, v2
	v_cndmask_b32_e32 v3, v5, v4, vcc
	v_mul_f32_e32 v1, 0.5, v1
	v_mul_f32_e32 v1, v3, v1
                                        ; implicit-def: $vgpr3
.LBB18_701:
	s_andn2_saveexec_b64 s[8:9], s[0:1]
	s_cbranch_execz .LBB18_703
; %bb.702:
	v_and_b32_e32 v1, 0x7fffffff, v3
	s_mov_b32 s10, 0x42000000
	v_div_scale_f32 v2, s[0:1], v1, v1, s10
	v_div_scale_f32 v1, vcc, s10, v1, s10
	s_mov_b32 s0, 0x3fb8aa3b
	v_mul_f32_e64 v6, |v3|, s0
	s_mov_b32 s1, 0x32a5705f
	v_rndne_f32_e32 v10, v6
	v_fma_f32 v11, |v3|, s0, -v6
	s_mov_b32 s13, 0xf800000
	s_mov_b32 s14, 0x4f800000
	v_sub_f32_e32 v6, v6, v10
	v_mul_f32_e64 v9, |v3|, s14
	v_mov_b32_e32 v4, 0xa2b236d3
	v_mov_b32_e32 v5, 0x23056dbb
	s_mov_b32 s11, 0xc2ce8ed0
	v_rcp_f32_e32 v7, v2
	s_mov_b32 s12, 0x42b17218
	v_fma_f32 v12, -v2, v7, 1.0
	v_fmac_f32_e32 v7, v12, v7
	v_mul_f32_e32 v12, v1, v7
	v_fma_f32 v13, -v2, v12, v1
	v_fmac_f32_e32 v12, v13, v7
	v_fma_f32 v1, -v2, v12, v1
	v_div_fmas_f32 v1, v1, v7, v12
	v_fma_f32 v7, |v3|, s1, v11
	v_cmp_lt_f32_e64 vcc, |v3|, s13
	v_add_f32_e32 v6, v6, v7
	v_cndmask_b32_e64 v2, |v3|, v9, vcc
	v_cvt_i32_f32_e32 v9, v10
	v_exp_f32_e32 v6, v6
	v_cmp_nlt_f32_e64 s[0:1], |v3|, s11
	v_sqrt_f32_e32 v10, v2
	v_mov_b32_e32 v7, 0x7f800000
	v_ldexp_f32 v6, v6, v9
	v_cndmask_b32_e64 v6, 0, v6, s[0:1]
	v_cmp_ngt_f32_e64 s[0:1], |v3|, s12
	v_add_u32_e32 v11, -1, v10
	v_fma_f32 v12, -v11, v10, v2
	v_cndmask_b32_e64 v6, v7, v6, s[0:1]
	v_div_fixup_f32 v1, v1, |v3|, s10
	v_add_f32_e32 v1, -2.0, v1
	v_fmac_f32_e32 v4, 0xa3056dbb, v1
	v_fmac_f32_e32 v5, v1, v4
	v_add_f32_e32 v3, 0x244df0c1, v5
	v_fma_f32 v4, v1, v3, -v4
	v_add_f32_e32 v4, 0x241f9ee8, v4
	v_fma_f32 v3, v1, v4, -v3
	;; [unrolled: 2-line block ×22, first 2 shown]
	v_add_u32_e32 v4, 1, v10
	v_add_f32_e32 v1, 0x3f4df315, v1
	v_cmp_ge_f32_e64 s[0:1], 0, v12
	v_fma_f32 v5, -v4, v10, v2
	v_sub_f32_e32 v1, v1, v3
	v_cndmask_b32_e64 v3, v10, v11, s[0:1]
	v_cmp_lt_f32_e64 s[0:1], 0, v5
	v_cndmask_b32_e64 v3, v3, v4, s[0:1]
	v_mul_f32_e32 v4, 0x37800000, v3
	v_cndmask_b32_e32 v3, v3, v4, vcc
	v_mov_b32_e32 v4, 0x260
	v_mul_f32_e32 v1, 0.5, v1
	v_cmp_class_f32_e32 vcc, v2, v4
	v_mul_f32_e32 v1, v6, v1
	v_cndmask_b32_e32 v2, v3, v2, vcc
	v_div_scale_f32 v3, s[0:1], v2, v2, v1
	v_div_scale_f32 v4, vcc, v1, v2, v1
	v_rcp_f32_e32 v5, v3
	v_fma_f32 v6, -v3, v5, 1.0
	v_fmac_f32_e32 v5, v6, v5
	v_mul_f32_e32 v6, v4, v5
	v_fma_f32 v7, -v3, v6, v4
	v_fmac_f32_e32 v6, v7, v5
	v_fma_f32 v3, -v3, v6, v4
	v_div_fmas_f32 v3, v3, v5, v6
	v_div_fixup_f32 v1, v3, v2, v1
.LBB18_703:
	s_or_b64 exec, exec, s[8:9]
	v_mov_b32_e32 v2, s25
	s_and_b32 s14, s73, 0xff
	v_add_co_u32_e32 v3, vcc, s24, v0
	s_cmp_lt_i32 s14, 11
	v_addc_co_u32_e32 v4, vcc, 0, v2, vcc
	s_cbranch_scc1 .LBB18_711
; %bb.704:
	s_and_b32 s15, 0xffff, s14
	s_cmp_gt_i32 s15, 25
	s_cbranch_scc0 .LBB18_712
; %bb.705:
	s_cmp_gt_i32 s15, 28
	s_cbranch_scc0 .LBB18_713
; %bb.706:
	;; [unrolled: 3-line block ×4, first 2 shown]
	s_mov_b64 s[10:11], 0
	s_mov_b64 s[0:1], -1
	s_cmp_eq_u32 s15, 46
	s_mov_b64 s[8:9], 0
	s_cbranch_scc0 .LBB18_716
; %bb.709:
	v_bfe_u32 v0, v1, 16, 1
	s_movk_i32 s0, 0x7fff
	v_add3_u32 v0, v1, v0, s0
	v_cmp_o_f32_e32 vcc, v1, v1
	v_mov_b32_e32 v2, 0x7fc0
	v_cndmask_b32_sdwa v0, v2, v0, vcc dst_sel:DWORD dst_unused:UNUSED_PAD src0_sel:DWORD src1_sel:WORD_1
	global_store_dword v[3:4], v0, off
	s_mov_b64 s[8:9], -1
	s_mov_b64 s[0:1], 0
	s_branch .LBB18_716
.LBB18_710:
	s_mov_b64 s[8:9], 0
	s_mov_b64 s[0:1], s[60:61]
	s_branch .LBB18_827
.LBB18_711:
	s_mov_b64 s[10:11], -1
	s_mov_b64 s[8:9], 0
	s_mov_b64 s[0:1], s[60:61]
	s_branch .LBB18_785
.LBB18_712:
	s_mov_b64 s[10:11], -1
	s_mov_b64 s[8:9], 0
	s_mov_b64 s[0:1], s[60:61]
	s_branch .LBB18_743
.LBB18_713:
	s_mov_b64 s[10:11], -1
	s_mov_b64 s[8:9], 0
	s_mov_b64 s[0:1], s[60:61]
	s_branch .LBB18_726
.LBB18_714:
	s_mov_b64 s[10:11], -1
	s_mov_b64 s[8:9], 0
	s_mov_b64 s[0:1], s[60:61]
	s_branch .LBB18_722
.LBB18_715:
	s_mov_b64 s[10:11], -1
	s_mov_b64 s[8:9], 0
	s_mov_b64 s[0:1], s[60:61]
.LBB18_716:
	s_and_b64 vcc, exec, s[10:11]
	s_cbranch_vccz .LBB18_721
; %bb.717:
	s_cmp_eq_u32 s15, 44
	s_mov_b64 s[0:1], -1
	s_cbranch_scc0 .LBB18_721
; %bb.718:
	v_bfe_u32 v0, v1, 23, 8
	s_movk_i32 s0, 0xff
	v_cmp_ne_u32_e32 vcc, s0, v0
	v_mov_b32_e32 v2, 0xff
	s_and_saveexec_b64 s[8:9], vcc
; %bb.719:
	s_mov_b32 s0, 0x3fffff
	v_and_b32_e32 v5, 0x400000, v1
	v_and_or_b32 v0, v1, s0, v0
	v_cmp_ne_u32_e32 vcc, 0, v5
	v_cmp_ne_u32_e64 s[0:1], 0, v0
	s_and_b64 s[0:1], vcc, s[0:1]
	v_lshrrev_b32_e32 v2, 23, v1
	v_cndmask_b32_e64 v0, 0, 1, s[0:1]
	v_add_u32_e32 v2, v2, v0
; %bb.720:
	s_or_b64 exec, exec, s[8:9]
	s_mov_b64 s[8:9], -1
	s_mov_b64 s[0:1], 0
	global_store_byte v[3:4], v2, off
.LBB18_721:
	s_mov_b64 s[10:11], 0
.LBB18_722:
	s_and_b64 vcc, exec, s[10:11]
	s_cbranch_vccz .LBB18_725
; %bb.723:
	s_cmp_eq_u32 s15, 29
	s_mov_b64 s[0:1], -1
	s_cbranch_scc0 .LBB18_725
; %bb.724:
	v_trunc_f32_e32 v0, v1
	v_mul_f32_e32 v2, 0x2f800000, v0
	v_floor_f32_e32 v2, v2
	v_fmac_f32_e32 v0, 0xcf800000, v2
	v_cvt_u32_f32_e32 v6, v2
	v_cvt_u32_f32_e32 v5, v0
	s_mov_b64 s[8:9], -1
	s_mov_b64 s[0:1], 0
	s_mov_b64 s[10:11], 0
	global_store_dwordx2 v[3:4], v[5:6], off
	s_branch .LBB18_726
.LBB18_725:
	s_mov_b64 s[10:11], 0
.LBB18_726:
	s_and_b64 vcc, exec, s[10:11]
	s_cbranch_vccz .LBB18_742
; %bb.727:
	s_cmp_lt_i32 s15, 27
	s_mov_b64 s[8:9], -1
	s_cbranch_scc1 .LBB18_733
; %bb.728:
	v_cvt_u32_f32_e32 v0, v1
	s_cmp_gt_i32 s15, 27
	s_cbranch_scc0 .LBB18_730
; %bb.729:
	s_mov_b64 s[8:9], 0
	global_store_dword v[3:4], v0, off
.LBB18_730:
	s_andn2_b64 vcc, exec, s[8:9]
	s_cbranch_vccnz .LBB18_732
; %bb.731:
	global_store_short v[3:4], v0, off
.LBB18_732:
	s_mov_b64 s[8:9], 0
.LBB18_733:
	s_andn2_b64 vcc, exec, s[8:9]
	s_cbranch_vccnz .LBB18_741
; %bb.734:
	v_and_b32_e32 v0, 0x7fffffff, v1
	s_mov_b32 s8, 0x43800000
	v_cmp_gt_u32_e32 vcc, s8, v0
	v_mov_b32_e32 v2, 0x80
	s_and_saveexec_b64 s[8:9], vcc
	s_cbranch_execz .LBB18_740
; %bb.735:
	s_mov_b32 s10, 0x3bffffff
	v_cmp_lt_u32_e32 vcc, s10, v0
	s_mov_b64 s[10:11], 0
                                        ; implicit-def: $vgpr0
	s_and_saveexec_b64 s[12:13], vcc
	s_xor_b64 s[12:13], exec, s[12:13]
	s_cbranch_execz .LBB18_857
; %bb.736:
	v_bfe_u32 v0, v1, 20, 1
	s_mov_b32 s16, 0x487ffff
	v_add3_u32 v0, v1, v0, s16
	s_mov_b64 s[10:11], exec
	v_lshrrev_b32_e32 v0, 20, v0
	s_andn2_saveexec_b64 s[12:13], s[12:13]
	s_cbranch_execnz .LBB18_858
.LBB18_737:
	s_or_b64 exec, exec, s[12:13]
	v_mov_b32_e32 v2, 0
	s_and_saveexec_b64 s[12:13], s[10:11]
.LBB18_738:
	v_lshrrev_b32_e32 v2, 24, v1
	s_movk_i32 s10, 0x80
	v_and_or_b32 v2, v2, s10, v0
.LBB18_739:
	s_or_b64 exec, exec, s[12:13]
.LBB18_740:
	s_or_b64 exec, exec, s[8:9]
	global_store_byte v[3:4], v2, off
.LBB18_741:
	s_mov_b64 s[8:9], -1
.LBB18_742:
	s_mov_b64 s[10:11], 0
.LBB18_743:
	s_and_b64 vcc, exec, s[10:11]
	s_cbranch_vccz .LBB18_784
; %bb.744:
	s_cmp_gt_i32 s15, 22
	s_mov_b64 s[10:11], -1
	s_cbranch_scc0 .LBB18_776
; %bb.745:
	s_cmp_lt_i32 s15, 24
	s_mov_b64 s[8:9], -1
	s_cbranch_scc1 .LBB18_765
; %bb.746:
	s_cmp_gt_i32 s15, 24
	s_cbranch_scc0 .LBB18_754
; %bb.747:
	v_and_b32_e32 v0, 0x7fffffff, v1
	s_mov_b32 s8, 0x47800000
	v_cmp_gt_u32_e32 vcc, s8, v0
	v_mov_b32_e32 v2, 0x80
	s_and_saveexec_b64 s[8:9], vcc
	s_cbranch_execz .LBB18_753
; %bb.748:
	s_mov_b32 s10, 0x37ffffff
	v_cmp_lt_u32_e32 vcc, s10, v0
	s_mov_b64 s[10:11], 0
                                        ; implicit-def: $vgpr0
	s_and_saveexec_b64 s[12:13], vcc
	s_xor_b64 s[12:13], exec, s[12:13]
	s_cbranch_execz .LBB18_860
; %bb.749:
	v_bfe_u32 v0, v1, 21, 1
	s_mov_b32 s16, 0x88fffff
	v_add3_u32 v0, v1, v0, s16
	s_mov_b64 s[10:11], exec
	v_lshrrev_b32_e32 v0, 21, v0
	s_andn2_saveexec_b64 s[12:13], s[12:13]
	s_cbranch_execnz .LBB18_861
.LBB18_750:
	s_or_b64 exec, exec, s[12:13]
	v_mov_b32_e32 v2, 0
	s_and_saveexec_b64 s[12:13], s[10:11]
.LBB18_751:
	v_lshrrev_b32_e32 v2, 24, v1
	s_movk_i32 s10, 0x80
	v_and_or_b32 v2, v2, s10, v0
.LBB18_752:
	s_or_b64 exec, exec, s[12:13]
.LBB18_753:
	s_or_b64 exec, exec, s[8:9]
	s_mov_b64 s[8:9], 0
	global_store_byte v[3:4], v2, off
.LBB18_754:
	s_and_b64 vcc, exec, s[8:9]
	s_cbranch_vccz .LBB18_764
; %bb.755:
	v_and_b32_e32 v2, 0x7fffffff, v1
	s_mov_b32 s8, 0x43f00000
	v_cmp_gt_u32_e32 vcc, s8, v2
                                        ; implicit-def: $vgpr0
	s_and_saveexec_b64 s[8:9], vcc
	s_xor_b64 s[8:9], exec, s[8:9]
	s_cbranch_execz .LBB18_761
; %bb.756:
	s_mov_b32 s10, 0x3c7fffff
	v_cmp_lt_u32_e32 vcc, s10, v2
                                        ; implicit-def: $vgpr0
	s_and_saveexec_b64 s[10:11], vcc
	s_xor_b64 s[10:11], exec, s[10:11]
; %bb.757:
	v_bfe_u32 v0, v1, 20, 1
	s_mov_b32 s12, 0x407ffff
	v_add3_u32 v0, v1, v0, s12
	v_lshrrev_b32_e32 v2, 20, v0
	v_and_b32_e32 v0, 0xff00000, v0
	s_mov_b32 s12, 0x7f00000
	v_mov_b32_e32 v5, 0x7e
	v_cmp_ne_u32_e32 vcc, s12, v0
	v_cndmask_b32_e32 v0, v5, v2, vcc
; %bb.758:
	s_andn2_saveexec_b64 s[10:11], s[10:11]
; %bb.759:
	s_mov_b32 s12, 0x46800000
	v_add_f32_e64 v0, |v1|, s12
; %bb.760:
	s_or_b64 exec, exec, s[10:11]
                                        ; implicit-def: $vgpr2
.LBB18_761:
	s_andn2_saveexec_b64 s[8:9], s[8:9]
; %bb.762:
	s_mov_b32 s10, 0x7f800000
	v_mov_b32_e32 v0, 0x7e
	v_mov_b32_e32 v5, 0x7f
	v_cmp_lt_u32_e32 vcc, s10, v2
	v_cndmask_b32_e32 v0, v0, v5, vcc
; %bb.763:
	s_or_b64 exec, exec, s[8:9]
	v_lshrrev_b32_e32 v2, 24, v1
	s_movk_i32 s8, 0x80
	v_and_or_b32 v0, v2, s8, v0
	global_store_byte v[3:4], v0, off
.LBB18_764:
	s_mov_b64 s[8:9], 0
.LBB18_765:
	s_andn2_b64 vcc, exec, s[8:9]
	s_cbranch_vccnz .LBB18_775
; %bb.766:
	v_and_b32_e32 v2, 0x7fffffff, v1
	s_mov_b32 s8, 0x47800000
	v_cmp_gt_u32_e32 vcc, s8, v2
                                        ; implicit-def: $vgpr0
	s_and_saveexec_b64 s[8:9], vcc
	s_xor_b64 s[8:9], exec, s[8:9]
	s_cbranch_execz .LBB18_772
; %bb.767:
	s_mov_b32 s10, 0x387fffff
	v_cmp_lt_u32_e32 vcc, s10, v2
                                        ; implicit-def: $vgpr0
	s_and_saveexec_b64 s[10:11], vcc
	s_xor_b64 s[10:11], exec, s[10:11]
; %bb.768:
	v_bfe_u32 v0, v1, 21, 1
	s_mov_b32 s12, 0x80fffff
	v_add3_u32 v0, v1, v0, s12
	v_lshrrev_b32_e32 v0, 21, v0
; %bb.769:
	s_andn2_saveexec_b64 s[10:11], s[10:11]
; %bb.770:
	s_mov_b32 s12, 0x43000000
	v_add_f32_e64 v0, |v1|, s12
; %bb.771:
	s_or_b64 exec, exec, s[10:11]
                                        ; implicit-def: $vgpr2
.LBB18_772:
	s_andn2_saveexec_b64 s[8:9], s[8:9]
; %bb.773:
	s_mov_b32 s10, 0x7f800000
	v_mov_b32_e32 v0, 0x7c
	v_mov_b32_e32 v5, 0x7f
	v_cmp_lt_u32_e32 vcc, s10, v2
	v_cndmask_b32_e32 v0, v0, v5, vcc
; %bb.774:
	s_or_b64 exec, exec, s[8:9]
	v_lshrrev_b32_e32 v2, 24, v1
	s_movk_i32 s8, 0x80
	v_and_or_b32 v0, v2, s8, v0
	global_store_byte v[3:4], v0, off
.LBB18_775:
	s_mov_b64 s[10:11], 0
	s_mov_b64 s[8:9], -1
.LBB18_776:
	s_andn2_b64 vcc, exec, s[10:11]
	s_cbranch_vccnz .LBB18_784
; %bb.777:
	s_cmp_gt_i32 s15, 14
	s_mov_b64 s[10:11], -1
	s_cbranch_scc0 .LBB18_781
; %bb.778:
	s_cmp_eq_u32 s15, 15
	s_mov_b64 s[0:1], -1
	s_cbranch_scc0 .LBB18_780
; %bb.779:
	v_bfe_u32 v0, v1, 16, 1
	s_movk_i32 s0, 0x7fff
	v_add3_u32 v0, v1, v0, s0
	v_cmp_o_f32_e32 vcc, v1, v1
	v_mov_b32_e32 v2, 0x7fc0
	v_cndmask_b32_sdwa v0, v2, v0, vcc dst_sel:DWORD dst_unused:UNUSED_PAD src0_sel:DWORD src1_sel:WORD_1
	global_store_short v[3:4], v0, off
	s_mov_b64 s[8:9], -1
	s_mov_b64 s[0:1], 0
.LBB18_780:
	s_mov_b64 s[10:11], 0
.LBB18_781:
	s_and_b64 vcc, exec, s[10:11]
	s_cbranch_vccz .LBB18_784
; %bb.782:
	s_cmp_eq_u32 s15, 11
	s_mov_b64 s[0:1], -1
	s_cbranch_scc0 .LBB18_784
; %bb.783:
	v_cmp_neq_f32_e32 vcc, 0, v1
	v_cndmask_b32_e64 v0, 0, 1, vcc
	s_mov_b64 s[8:9], -1
	s_mov_b64 s[0:1], 0
	global_store_byte v[3:4], v0, off
.LBB18_784:
	s_mov_b64 s[10:11], 0
.LBB18_785:
	s_and_b64 vcc, exec, s[10:11]
	s_cbranch_vccz .LBB18_824
; %bb.786:
	s_and_b32 s10, 0xffff, s14
	s_cmp_lt_i32 s10, 5
	s_mov_b64 s[8:9], -1
	s_cbranch_scc1 .LBB18_807
; %bb.787:
	s_cmp_lt_i32 s10, 8
	s_cbranch_scc1 .LBB18_797
; %bb.788:
	s_cmp_lt_i32 s10, 9
	s_cbranch_scc1 .LBB18_794
; %bb.789:
	s_cmp_gt_i32 s10, 9
	s_cbranch_scc0 .LBB18_791
; %bb.790:
	v_cvt_f64_f32_e32 v[9:10], v1
	v_mov_b32_e32 v11, 0
	v_mov_b32_e32 v12, v11
	s_mov_b64 s[8:9], 0
	global_store_dwordx4 v[3:4], v[9:12], off
.LBB18_791:
	s_andn2_b64 vcc, exec, s[8:9]
	s_cbranch_vccnz .LBB18_793
; %bb.792:
	v_mov_b32_e32 v2, 0
	global_store_dwordx2 v[3:4], v[1:2], off
.LBB18_793:
	s_mov_b64 s[8:9], 0
.LBB18_794:
	s_andn2_b64 vcc, exec, s[8:9]
	s_cbranch_vccnz .LBB18_796
; %bb.795:
	v_cvt_f16_f32_e32 v0, v1
	global_store_dword v[3:4], v0, off
.LBB18_796:
	s_mov_b64 s[8:9], 0
.LBB18_797:
	s_andn2_b64 vcc, exec, s[8:9]
	s_cbranch_vccnz .LBB18_806
; %bb.798:
	s_cmp_lt_i32 s10, 6
	s_mov_b64 s[8:9], -1
	s_cbranch_scc1 .LBB18_804
; %bb.799:
	s_cmp_gt_i32 s10, 6
	s_cbranch_scc0 .LBB18_801
; %bb.800:
	v_cvt_f64_f32_e32 v[5:6], v1
	s_mov_b64 s[8:9], 0
	global_store_dwordx2 v[3:4], v[5:6], off
.LBB18_801:
	s_andn2_b64 vcc, exec, s[8:9]
	s_cbranch_vccnz .LBB18_803
; %bb.802:
	global_store_dword v[3:4], v1, off
.LBB18_803:
	s_mov_b64 s[8:9], 0
.LBB18_804:
	s_andn2_b64 vcc, exec, s[8:9]
	s_cbranch_vccnz .LBB18_806
; %bb.805:
	v_cvt_f16_f32_e32 v0, v1
	global_store_short v[3:4], v0, off
.LBB18_806:
	s_mov_b64 s[8:9], 0
.LBB18_807:
	s_andn2_b64 vcc, exec, s[8:9]
	s_cbranch_vccnz .LBB18_823
; %bb.808:
	s_cmp_lt_i32 s10, 2
	s_mov_b64 s[8:9], -1
	s_cbranch_scc1 .LBB18_818
; %bb.809:
	s_cmp_lt_i32 s10, 3
	s_cbranch_scc1 .LBB18_815
; %bb.810:
	s_cmp_gt_i32 s10, 3
	s_cbranch_scc0 .LBB18_812
; %bb.811:
	v_trunc_f32_e32 v0, v1
	s_mov_b32 s8, 0x2f800000
	v_mul_f32_e64 v2, |v0|, s8
	v_floor_f32_e32 v2, v2
	s_mov_b32 s8, 0xcf800000
	v_cvt_u32_f32_e32 v5, v2
	v_fma_f32 v2, v2, s8, |v0|
	v_cvt_u32_f32_e32 v2, v2
	v_ashrrev_i32_e32 v0, 31, v0
	v_xor_b32_e32 v6, v5, v0
	s_mov_b64 s[8:9], 0
	v_xor_b32_e32 v2, v2, v0
	v_sub_co_u32_e32 v5, vcc, v2, v0
	v_subb_co_u32_e32 v6, vcc, v6, v0, vcc
	global_store_dwordx2 v[3:4], v[5:6], off
.LBB18_812:
	s_andn2_b64 vcc, exec, s[8:9]
	s_cbranch_vccnz .LBB18_814
; %bb.813:
	v_cvt_i32_f32_e32 v0, v1
	global_store_dword v[3:4], v0, off
.LBB18_814:
	s_mov_b64 s[8:9], 0
.LBB18_815:
	s_andn2_b64 vcc, exec, s[8:9]
	s_cbranch_vccnz .LBB18_817
; %bb.816:
	v_cvt_i32_f32_e32 v0, v1
	global_store_short v[3:4], v0, off
.LBB18_817:
	s_mov_b64 s[8:9], 0
.LBB18_818:
	s_andn2_b64 vcc, exec, s[8:9]
	s_cbranch_vccnz .LBB18_823
; %bb.819:
	s_cmp_gt_i32 s10, 0
	s_mov_b64 s[8:9], -1
	s_cbranch_scc0 .LBB18_821
; %bb.820:
	v_cvt_i32_f32_e32 v0, v1
	s_mov_b64 s[8:9], 0
	global_store_byte v[3:4], v0, off
.LBB18_821:
	s_andn2_b64 vcc, exec, s[8:9]
	s_cbranch_vccnz .LBB18_823
; %bb.822:
	v_trunc_f32_e32 v0, v1
	s_mov_b32 s8, 0x2f800000
	v_mul_f32_e64 v1, |v0|, s8
	v_floor_f32_e32 v1, v1
	s_mov_b32 s8, 0xcf800000
	v_fma_f32 v1, v1, s8, |v0|
	v_cvt_u32_f32_e32 v1, v1
	v_ashrrev_i32_e32 v0, 31, v0
	v_xor_b32_e32 v1, v1, v0
	v_sub_u32_e32 v0, v1, v0
	global_store_byte v[3:4], v0, off
.LBB18_823:
	s_mov_b64 s[8:9], -1
.LBB18_824:
	s_andn2_b64 vcc, exec, s[8:9]
	s_cbranch_vccnz .LBB18_826
; %bb.825:
	v_add_u32_e32 v8, 0x80, v8
	s_mov_b64 s[8:9], -1
	s_branch .LBB18_828
.LBB18_826:
	s_mov_b64 s[8:9], 0
.LBB18_827:
                                        ; implicit-def: $vgpr8
.LBB18_828:
	s_andn2_b64 s[10:11], s[60:61], exec
	s_and_b64 s[0:1], s[0:1], exec
	s_or_b64 s[68:69], s[10:11], s[0:1]
	s_andn2_b64 s[0:1], s[58:59], exec
	s_and_b64 s[2:3], s[2:3], exec
	s_or_b64 s[66:67], s[0:1], s[2:3]
	s_orn2_b64 s[2:3], s[8:9], exec
.LBB18_829:
	s_or_b64 exec, exec, s[64:65]
	s_mov_b64 s[0:1], 0
	s_mov_b64 s[8:9], 0
	;; [unrolled: 1-line block ×3, first 2 shown]
                                        ; implicit-def: $vgpr1_vgpr2
                                        ; implicit-def: $vgpr0
                                        ; implicit-def: $vgpr5
	s_and_saveexec_b64 s[64:65], s[2:3]
	s_cbranch_execz .LBB18_928
; %bb.830:
	v_cmp_gt_i32_e32 vcc, s70, v8
	s_mov_b64 s[2:3], 0
	s_mov_b64 s[12:13], s[66:67]
                                        ; implicit-def: $vgpr1_vgpr2
                                        ; implicit-def: $vgpr0
                                        ; implicit-def: $vgpr5
	s_and_saveexec_b64 s[70:71], vcc
	s_cbranch_execz .LBB18_927
; %bb.831:
	s_andn2_b64 vcc, exec, s[40:41]
	s_cbranch_vccnz .LBB18_836
; %bb.832:
	s_andn2_b64 vcc, exec, s[50:51]
	s_cbranch_vccnz .LBB18_837
; %bb.833:
	s_add_i32 s76, s75, 1
	s_cmp_eq_u32 s72, 2
	s_cbranch_scc1 .LBB18_838
; %bb.834:
	s_and_b32 s75, s76, 28
	v_mov_b32_e32 v2, 0
	s_mov_b32 s77, 0
	s_mov_b64 s[50:51], s[34:35]
	v_mov_b32_e32 v0, 0
	v_mov_b32_e32 v1, v8
.LBB18_835:                             ; =>This Inner Loop Header: Depth=1
	s_load_dwordx8 s[16:23], s[50:51], 0x4
	s_load_dwordx4 s[0:3], s[50:51], 0x24
	s_load_dwordx8 s[8:15], s[48:49], 0x0
	s_add_u32 s50, s50, 48
	s_addc_u32 s51, s51, 0
	s_waitcnt vmcnt(0) lgkmcnt(0)
	v_mul_hi_u32 v3, s17, v1
	s_add_i32 s77, s77, 4
	s_add_u32 s48, s48, 32
	s_addc_u32 s49, s49, 0
	v_add_u32_e32 v3, v1, v3
	v_lshrrev_b32_e32 v3, s18, v3
	v_mul_lo_u32 v4, v3, s16
	v_mul_hi_u32 v5, s20, v3
	s_cmp_eq_u32 s75, s77
	v_sub_u32_e32 v1, v1, v4
	v_add_u32_e32 v4, v3, v5
	v_mul_lo_u32 v5, v1, s8
	v_mul_lo_u32 v6, v1, s9
	v_lshrrev_b32_e32 v1, s21, v4
	v_mul_lo_u32 v4, v1, s19
	v_mul_hi_u32 v7, s23, v1
	v_sub_u32_e32 v3, v3, v4
	v_add_u32_e32 v4, v1, v7
	v_lshrrev_b32_e32 v4, s0, v4
	v_mul_hi_u32 v9, s2, v4
	v_mul_lo_u32 v10, v4, s22
	v_mul_lo_u32 v7, v3, s10
	;; [unrolled: 1-line block ×3, first 2 shown]
	v_sub_u32_e32 v10, v1, v10
	v_add_u32_e32 v1, v4, v9
	v_lshrrev_b32_e32 v1, s3, v1
	v_mul_lo_u32 v9, v1, s1
	v_mul_lo_u32 v11, v10, s12
	;; [unrolled: 1-line block ×3, first 2 shown]
	v_add3_u32 v0, v5, v0, v7
	v_sub_u32_e32 v4, v4, v9
	v_mul_lo_u32 v9, v4, s14
	v_mul_lo_u32 v4, v4, s15
	v_add3_u32 v2, v6, v2, v3
	v_add3_u32 v0, v11, v0, v9
	v_add3_u32 v2, v10, v2, v4
	s_cbranch_scc0 .LBB18_835
	s_branch .LBB18_839
.LBB18_836:
	s_mov_b64 s[0:1], -1
                                        ; implicit-def: $vgpr0
                                        ; implicit-def: $vgpr2
	s_branch .LBB18_843
.LBB18_837:
	v_mov_b32_e32 v0, 0
	v_mov_b32_e32 v2, 0
	s_branch .LBB18_842
.LBB18_838:
	s_mov_b32 s75, 0
	v_mov_b32_e32 v0, 0
	v_mov_b32_e32 v2, 0
	;; [unrolled: 1-line block ×3, first 2 shown]
.LBB18_839:
	s_and_b32 s8, s76, 3
	s_cmp_eq_u32 s8, 0
	s_cbranch_scc1 .LBB18_842
; %bb.840:
	s_lshl_b32 s0, s75, 3
	s_add_u32 s0, s34, s0
	s_addc_u32 s1, s35, 0
	s_add_u32 s0, s0, 0xc4
	s_addc_u32 s1, s1, 0
	s_mul_i32 s2, s75, 12
	s_add_u32 s2, s34, s2
	s_addc_u32 s3, s35, 0
.LBB18_841:                             ; =>This Inner Loop Header: Depth=1
	s_load_dwordx2 s[10:11], s[2:3], 0x4
	s_load_dword s9, s[2:3], 0xc
	s_load_dwordx2 s[12:13], s[0:1], 0x0
	s_add_u32 s2, s2, 12
	s_addc_u32 s3, s3, 0
	s_waitcnt vmcnt(0) lgkmcnt(0)
	v_mul_hi_u32 v3, s11, v1
	s_add_u32 s0, s0, 8
	s_addc_u32 s1, s1, 0
	s_add_i32 s8, s8, -1
	v_add_u32_e32 v3, v1, v3
	v_lshrrev_b32_e32 v4, s9, v3
	v_mul_lo_u32 v3, v4, s10
	s_cmp_lg_u32 s8, 0
	v_sub_u32_e32 v3, v1, v3
	v_mad_u64_u32 v[0:1], s[10:11], v3, s12, v[0:1]
	v_mad_u64_u32 v[2:3], s[10:11], v3, s13, v[2:3]
	v_mov_b32_e32 v1, v4
	s_cbranch_scc1 .LBB18_841
.LBB18_842:
	s_mov_b64 s[0:1], 0
.LBB18_843:
	s_andn2_b64 vcc, exec, s[0:1]
	s_cbranch_vccnz .LBB18_846
; %bb.844:
	s_waitcnt lgkmcnt(0)
	v_mul_hi_u32 v0, s37, v8
	s_andn2_b64 vcc, exec, s[46:47]
	v_add_u32_e32 v0, v8, v0
	v_lshrrev_b32_e32 v1, s38, v0
	v_mul_lo_u32 v0, v1, s36
	v_sub_u32_e32 v2, v8, v0
	v_mul_lo_u32 v0, v2, s28
	v_mul_lo_u32 v2, v2, s29
	s_cbranch_vccnz .LBB18_846
; %bb.845:
	s_waitcnt vmcnt(0)
	v_mul_hi_u32 v3, s44, v1
	v_add_u32_e32 v3, v1, v3
	v_lshrrev_b32_e32 v3, s45, v3
	v_mul_lo_u32 v3, v3, s39
	v_sub_u32_e32 v3, v1, v3
	v_mad_u64_u32 v[0:1], s[0:1], v3, s30, v[0:1]
	v_mad_u64_u32 v[2:3], s[0:1], v3, s31, v[2:3]
.LBB18_846:
	s_waitcnt vmcnt(0) lgkmcnt(0)
	v_mov_b32_e32 v3, s27
	s_and_b32 s14, 0xffff, s74
	v_add_co_u32_e32 v1, vcc, s26, v2
	s_cmp_lt_i32 s14, 11
	v_addc_co_u32_e32 v2, vcc, 0, v3, vcc
	s_cbranch_scc1 .LBB18_853
; %bb.847:
	s_cmp_gt_i32 s14, 25
	s_mov_b64 s[2:3], 0
	s_cbranch_scc0 .LBB18_854
; %bb.848:
	s_cmp_gt_i32 s14, 28
	s_cbranch_scc0 .LBB18_855
; %bb.849:
	s_cmp_gt_i32 s14, 43
	s_cbranch_scc0 .LBB18_856
; %bb.850:
	s_cmp_gt_i32 s14, 45
	s_cbranch_scc0 .LBB18_859
; %bb.851:
	s_cmp_eq_u32 s14, 46
	s_mov_b64 s[10:11], 0
	s_cbranch_scc0 .LBB18_862
; %bb.852:
	global_load_dword v3, v[1:2], off
	s_mov_b64 s[0:1], 0
	s_mov_b64 s[8:9], -1
	s_waitcnt vmcnt(0)
	v_lshlrev_b32_e32 v5, 16, v3
	s_branch .LBB18_863
.LBB18_853:
	s_mov_b64 s[12:13], -1
	s_mov_b64 s[8:9], 0
	s_mov_b64 s[2:3], 0
	;; [unrolled: 1-line block ×3, first 2 shown]
                                        ; implicit-def: $vgpr5
	s_branch .LBB18_926
.LBB18_854:
	s_mov_b64 s[10:11], -1
	s_mov_b64 s[8:9], 0
	s_mov_b64 s[0:1], s[66:67]
                                        ; implicit-def: $vgpr5
	s_branch .LBB18_892
.LBB18_855:
	s_mov_b64 s[10:11], -1
	s_mov_b64 s[8:9], 0
	s_mov_b64 s[0:1], s[66:67]
                                        ; implicit-def: $vgpr5
	s_branch .LBB18_873
.LBB18_856:
	s_mov_b64 s[10:11], -1
	s_mov_b64 s[8:9], 0
	s_mov_b64 s[0:1], s[66:67]
                                        ; implicit-def: $vgpr5
	s_branch .LBB18_868
.LBB18_857:
	s_andn2_saveexec_b64 s[12:13], s[12:13]
	s_cbranch_execz .LBB18_737
.LBB18_858:
	s_mov_b32 s16, 0x46000000
	v_add_f32_e64 v0, |v1|, s16
	v_and_b32_e32 v0, 0xff, v0
	v_cmp_ne_u32_e32 vcc, 0, v0
	s_andn2_b64 s[10:11], s[10:11], exec
	s_and_b64 s[16:17], vcc, exec
	s_or_b64 s[10:11], s[10:11], s[16:17]
	s_or_b64 exec, exec, s[12:13]
	v_mov_b32_e32 v2, 0
	s_and_saveexec_b64 s[12:13], s[10:11]
	s_cbranch_execnz .LBB18_738
	s_branch .LBB18_739
.LBB18_859:
	s_mov_b64 s[10:11], -1
	s_mov_b64 s[8:9], 0
	s_mov_b64 s[0:1], s[66:67]
                                        ; implicit-def: $vgpr5
	s_branch .LBB18_863
.LBB18_860:
	s_andn2_saveexec_b64 s[12:13], s[12:13]
	s_cbranch_execz .LBB18_750
.LBB18_861:
	s_mov_b32 s16, 0x42800000
	v_add_f32_e64 v0, |v1|, s16
	v_and_b32_e32 v0, 0xff, v0
	v_cmp_ne_u32_e32 vcc, 0, v0
	s_andn2_b64 s[10:11], s[10:11], exec
	s_and_b64 s[16:17], vcc, exec
	s_or_b64 s[10:11], s[10:11], s[16:17]
	s_or_b64 exec, exec, s[12:13]
	v_mov_b32_e32 v2, 0
	s_and_saveexec_b64 s[12:13], s[10:11]
	s_cbranch_execnz .LBB18_751
	s_branch .LBB18_752
.LBB18_862:
	s_mov_b64 s[0:1], -1
                                        ; implicit-def: $vgpr5
	s_mov_b64 s[8:9], 0
.LBB18_863:
	s_and_b64 vcc, exec, s[10:11]
	s_cbranch_vccz .LBB18_867
; %bb.864:
	s_cmp_eq_u32 s14, 44
	s_cbranch_scc0 .LBB18_866
; %bb.865:
	global_load_ubyte v3, v[1:2], off
	s_movk_i32 s8, 0xff
	v_mov_b32_e32 v4, 0x7f800001
	v_mov_b32_e32 v5, 0x400000
	s_mov_b64 s[0:1], 0
	s_waitcnt vmcnt(0)
	v_lshlrev_b32_e32 v6, 23, v3
	v_cmp_ne_u32_e32 vcc, s8, v3
	v_cndmask_b32_e32 v4, v4, v6, vcc
	v_cmp_ne_u32_e32 vcc, 0, v3
	v_cndmask_b32_e32 v5, v5, v4, vcc
	s_mov_b64 s[8:9], -1
	s_branch .LBB18_867
.LBB18_866:
	s_mov_b64 s[0:1], -1
                                        ; implicit-def: $vgpr5
.LBB18_867:
	s_mov_b64 s[10:11], 0
.LBB18_868:
	s_and_b64 vcc, exec, s[10:11]
	s_cbranch_vccz .LBB18_872
; %bb.869:
	s_cmp_eq_u32 s14, 29
	s_cbranch_scc0 .LBB18_871
; %bb.870:
	global_load_dwordx2 v[3:4], v[1:2], off
	s_mov_b64 s[0:1], 0
	s_mov_b64 s[8:9], -1
	s_mov_b64 s[10:11], 0
	s_waitcnt vmcnt(0)
	v_ffbh_u32_e32 v5, v4
	v_min_u32_e32 v5, 32, v5
	v_lshlrev_b64 v[3:4], v5, v[3:4]
	v_min_u32_e32 v3, 1, v3
	v_or_b32_e32 v3, v4, v3
	v_cvt_f32_u32_e32 v3, v3
	v_sub_u32_e32 v4, 32, v5
	v_ldexp_f32 v5, v3, v4
	s_branch .LBB18_873
.LBB18_871:
	s_mov_b64 s[0:1], -1
                                        ; implicit-def: $vgpr5
.LBB18_872:
	s_mov_b64 s[10:11], 0
.LBB18_873:
	s_and_b64 vcc, exec, s[10:11]
	s_cbranch_vccz .LBB18_891
; %bb.874:
	s_cmp_lt_i32 s14, 27
	s_cbranch_scc1 .LBB18_877
; %bb.875:
	s_cmp_gt_i32 s14, 27
	s_cbranch_scc0 .LBB18_878
; %bb.876:
	global_load_dword v3, v[1:2], off
	s_mov_b64 s[8:9], 0
	s_waitcnt vmcnt(0)
	v_cvt_f32_u32_e32 v5, v3
	s_branch .LBB18_879
.LBB18_877:
	s_mov_b64 s[8:9], -1
                                        ; implicit-def: $vgpr5
	s_branch .LBB18_882
.LBB18_878:
	s_mov_b64 s[8:9], -1
                                        ; implicit-def: $vgpr5
.LBB18_879:
	s_andn2_b64 vcc, exec, s[8:9]
	s_cbranch_vccnz .LBB18_881
; %bb.880:
	global_load_ushort v3, v[1:2], off
	s_waitcnt vmcnt(0)
	v_cvt_f32_u32_e32 v5, v3
.LBB18_881:
	s_mov_b64 s[8:9], 0
.LBB18_882:
	s_andn2_b64 vcc, exec, s[8:9]
	s_cbranch_vccnz .LBB18_890
; %bb.883:
	global_load_ubyte v3, v[1:2], off
	s_movk_i32 s8, 0x7f
	s_waitcnt vmcnt(0)
	v_cmp_lt_i16_e32 vcc, s8, v3
	s_mov_b64 s[8:9], 0
	s_and_saveexec_b64 s[10:11], vcc
	s_xor_b64 s[10:11], exec, s[10:11]
	s_cbranch_execz .LBB18_904
; %bb.884:
	s_movk_i32 s8, 0x80
	v_cmp_eq_u16_e32 vcc, s8, v3
	s_mov_b64 s[8:9], -1
	s_and_saveexec_b64 s[12:13], vcc
; %bb.885:
	s_xor_b64 s[8:9], exec, -1
; %bb.886:
	s_or_b64 exec, exec, s[12:13]
	s_and_b64 s[8:9], s[8:9], exec
	s_or_saveexec_b64 s[10:11], s[10:11]
	v_mov_b32_e32 v5, 0x7f800001
	s_xor_b64 exec, exec, s[10:11]
	s_cbranch_execnz .LBB18_905
.LBB18_887:
	s_or_b64 exec, exec, s[10:11]
	s_and_saveexec_b64 s[10:11], s[8:9]
	s_cbranch_execz .LBB18_889
.LBB18_888:
	v_lshlrev_b32_e32 v4, 24, v3
	v_and_b32_e32 v3, 0xffff, v3
	v_and_b32_e32 v5, 7, v3
	v_ffbh_u32_e32 v7, v5
	v_min_u32_e32 v7, 32, v7
	v_subrev_u32_e32 v8, 28, v7
	v_bfe_u32 v6, v3, 3, 4
	v_lshlrev_b32_e32 v3, v8, v3
	v_sub_u32_e32 v7, 29, v7
	v_and_b32_e32 v3, 7, v3
	v_cmp_eq_u32_e32 vcc, 0, v6
	v_cndmask_b32_e32 v6, v6, v7, vcc
	v_cndmask_b32_e32 v3, v5, v3, vcc
	v_mov_b32_e32 v5, 0x3b800000
	v_lshlrev_b32_e32 v3, 20, v3
	v_and_b32_e32 v4, 0x80000000, v4
	v_lshl_add_u32 v5, v6, 23, v5
	v_or3_b32 v5, v4, v5, v3
.LBB18_889:
	s_or_b64 exec, exec, s[10:11]
.LBB18_890:
	s_mov_b64 s[8:9], -1
.LBB18_891:
	s_mov_b64 s[10:11], 0
.LBB18_892:
	s_and_b64 vcc, exec, s[10:11]
	s_cbranch_vccz .LBB18_925
; %bb.893:
	s_cmp_gt_i32 s14, 22
	s_cbranch_scc0 .LBB18_903
; %bb.894:
	s_cmp_lt_i32 s14, 24
	s_cbranch_scc1 .LBB18_906
; %bb.895:
	s_cmp_gt_i32 s14, 24
	s_cbranch_scc0 .LBB18_907
; %bb.896:
	global_load_ubyte v3, v[1:2], off
	s_movk_i32 s2, 0x7f
	s_waitcnt vmcnt(0)
	v_cmp_lt_i16_e32 vcc, s2, v3
	s_mov_b64 s[2:3], 0
	s_and_saveexec_b64 s[8:9], vcc
	s_xor_b64 s[8:9], exec, s[8:9]
	s_cbranch_execz .LBB18_919
; %bb.897:
	s_movk_i32 s2, 0x80
	v_cmp_eq_u16_e32 vcc, s2, v3
	s_mov_b64 s[2:3], -1
	s_and_saveexec_b64 s[10:11], vcc
; %bb.898:
	s_xor_b64 s[2:3], exec, -1
; %bb.899:
	s_or_b64 exec, exec, s[10:11]
	s_and_b64 s[2:3], s[2:3], exec
	s_or_saveexec_b64 s[8:9], s[8:9]
	v_mov_b32_e32 v5, 0x7f800001
	s_xor_b64 exec, exec, s[8:9]
	s_cbranch_execnz .LBB18_920
.LBB18_900:
	s_or_b64 exec, exec, s[8:9]
	s_and_saveexec_b64 s[8:9], s[2:3]
	s_cbranch_execz .LBB18_902
.LBB18_901:
	v_lshlrev_b32_e32 v4, 24, v3
	v_and_b32_e32 v3, 0xffff, v3
	v_and_b32_e32 v5, 3, v3
	v_ffbh_u32_e32 v7, v5
	v_min_u32_e32 v7, 32, v7
	v_subrev_u32_e32 v8, 29, v7
	v_bfe_u32 v6, v3, 2, 5
	v_lshlrev_b32_e32 v3, v8, v3
	v_sub_u32_e32 v7, 30, v7
	v_and_b32_e32 v3, 3, v3
	v_cmp_eq_u32_e32 vcc, 0, v6
	v_cndmask_b32_e32 v6, v6, v7, vcc
	v_cndmask_b32_e32 v3, v5, v3, vcc
	v_mov_b32_e32 v5, 0x37800000
	v_lshlrev_b32_e32 v3, 21, v3
	v_and_b32_e32 v4, 0x80000000, v4
	v_lshl_add_u32 v5, v6, 23, v5
	v_or3_b32 v5, v4, v5, v3
.LBB18_902:
	s_or_b64 exec, exec, s[8:9]
	s_mov_b64 s[2:3], 0
	s_branch .LBB18_908
.LBB18_903:
	s_mov_b64 s[2:3], -1
                                        ; implicit-def: $vgpr5
	s_branch .LBB18_914
.LBB18_904:
	s_or_saveexec_b64 s[10:11], s[10:11]
	v_mov_b32_e32 v5, 0x7f800001
	s_xor_b64 exec, exec, s[10:11]
	s_cbranch_execz .LBB18_887
.LBB18_905:
	v_cmp_ne_u16_e32 vcc, 0, v3
	s_andn2_b64 s[8:9], s[8:9], exec
	s_and_b64 s[12:13], vcc, exec
	v_mov_b32_e32 v5, 0
	s_or_b64 s[8:9], s[8:9], s[12:13]
	s_or_b64 exec, exec, s[10:11]
	s_and_saveexec_b64 s[10:11], s[8:9]
	s_cbranch_execnz .LBB18_888
	s_branch .LBB18_889
.LBB18_906:
	s_mov_b64 s[2:3], -1
                                        ; implicit-def: $vgpr5
	s_branch .LBB18_911
.LBB18_907:
	s_mov_b64 s[2:3], -1
                                        ; implicit-def: $vgpr5
.LBB18_908:
	s_and_b64 vcc, exec, s[2:3]
	s_cbranch_vccz .LBB18_910
; %bb.909:
	global_load_ubyte v3, v[1:2], off
	s_mov_b32 s2, 0x7f800000
	s_waitcnt vmcnt(0)
	v_lshlrev_b32_e32 v3, 24, v3
	v_and_b32_e32 v4, 0x7f000000, v3
	v_ffbh_u32_e32 v5, v4
	v_min_u32_e32 v5, 32, v5
	v_sub_u32_e64 v5, v5, 4 clamp
	v_lshlrev_b32_e32 v7, v5, v4
	v_lshlrev_b32_e32 v5, 23, v5
	v_lshrrev_b32_e32 v7, 4, v7
	v_add_u32_e32 v6, 0x1000000, v4
	v_sub_u32_e32 v5, v7, v5
	v_ashrrev_i32_e32 v6, 8, v6
	v_add_u32_e32 v5, 0x3c000000, v5
	v_and_or_b32 v5, v6, s2, v5
	v_cmp_ne_u32_e32 vcc, 0, v4
	v_cndmask_b32_e32 v4, 0, v5, vcc
	s_brev_b32 s2, 1
	v_and_or_b32 v5, v3, s2, v4
.LBB18_910:
	s_mov_b64 s[2:3], 0
.LBB18_911:
	s_andn2_b64 vcc, exec, s[2:3]
	s_cbranch_vccnz .LBB18_913
; %bb.912:
	global_load_ubyte v3, v[1:2], off
	s_movk_i32 s2, 0x7f00
	s_brev_b32 s3, 16
	s_waitcnt vmcnt(0)
	v_lshlrev_b16_e32 v4, 8, v3
	v_lshlrev_b32_e32 v3, 25, v3
	v_lshrrev_b32_e32 v5, 4, v3
	v_and_or_b32 v6, v4, s2, 0.5
	v_or_b32_e32 v5, 0x70000000, v5
	v_add_f32_e32 v6, -0.5, v6
	v_mul_f32_e32 v5, 0x7800000, v5
	v_cmp_gt_u32_e32 vcc, s3, v3
	v_bfe_i32 v4, v4, 0, 16
	v_cndmask_b32_e32 v3, v5, v6, vcc
	s_brev_b32 s2, 1
	v_and_or_b32 v5, v4, s2, v3
.LBB18_913:
	s_mov_b64 s[2:3], 0
	s_mov_b64 s[8:9], -1
.LBB18_914:
	s_andn2_b64 vcc, exec, s[2:3]
	s_mov_b64 s[2:3], 0
	s_cbranch_vccnz .LBB18_925
; %bb.915:
	s_cmp_gt_i32 s14, 14
	s_cbranch_scc0 .LBB18_918
; %bb.916:
	s_cmp_eq_u32 s14, 15
	s_cbranch_scc0 .LBB18_921
; %bb.917:
	global_load_ushort v3, v[1:2], off
	s_mov_b64 s[0:1], 0
	s_mov_b64 s[8:9], -1
	s_waitcnt vmcnt(0)
	v_lshlrev_b32_e32 v5, 16, v3
	s_branch .LBB18_922
.LBB18_918:
	s_mov_b64 s[10:11], -1
                                        ; implicit-def: $vgpr5
	s_branch .LBB18_923
.LBB18_919:
	s_or_saveexec_b64 s[8:9], s[8:9]
	v_mov_b32_e32 v5, 0x7f800001
	s_xor_b64 exec, exec, s[8:9]
	s_cbranch_execz .LBB18_900
.LBB18_920:
	v_cmp_ne_u16_e32 vcc, 0, v3
	s_andn2_b64 s[2:3], s[2:3], exec
	s_and_b64 s[10:11], vcc, exec
	v_mov_b32_e32 v5, 0
	s_or_b64 s[2:3], s[2:3], s[10:11]
	s_or_b64 exec, exec, s[8:9]
	s_and_saveexec_b64 s[8:9], s[2:3]
	s_cbranch_execnz .LBB18_901
	s_branch .LBB18_902
.LBB18_921:
	s_mov_b64 s[0:1], -1
                                        ; implicit-def: $vgpr5
.LBB18_922:
	s_mov_b64 s[10:11], 0
.LBB18_923:
	s_and_b64 vcc, exec, s[10:11]
	s_cbranch_vccz .LBB18_925
; %bb.924:
	s_cmp_lg_u32 s14, 11
	s_cselect_b64 s[10:11], -1, 0
	s_andn2_b64 s[0:1], s[0:1], exec
	s_and_b64 s[10:11], s[10:11], exec
	s_mov_b64 s[2:3], -1
	s_or_b64 s[0:1], s[0:1], s[10:11]
.LBB18_925:
	s_mov_b64 s[12:13], 0
.LBB18_926:
	s_and_b64 s[10:11], s[8:9], exec
	s_and_b64 s[8:9], s[12:13], exec
	s_andn2_b64 s[12:13], s[66:67], exec
	s_and_b64 s[0:1], s[0:1], exec
	s_and_b64 s[2:3], s[2:3], exec
	s_or_b64 s[12:13], s[12:13], s[0:1]
.LBB18_927:
	s_or_b64 exec, exec, s[70:71]
	s_and_b64 s[0:1], s[2:3], exec
	s_andn2_b64 s[2:3], s[66:67], exec
	s_and_b64 s[12:13], s[12:13], exec
	s_and_b64 s[10:11], s[10:11], exec
	;; [unrolled: 1-line block ×3, first 2 shown]
	s_or_b64 s[66:67], s[2:3], s[12:13]
.LBB18_928:
	s_or_b64 exec, exec, s[64:65]
	s_andn2_b64 s[2:3], s[60:61], exec
	s_and_b64 s[12:13], s[68:69], exec
	s_or_b64 s[60:61], s[2:3], s[12:13]
	s_and_b64 s[2:3], s[0:1], exec
	s_andn2_b64 s[0:1], s[58:59], exec
	s_and_b64 s[12:13], s[66:67], exec
	s_and_b64 s[10:11], s[10:11], exec
	;; [unrolled: 1-line block ×3, first 2 shown]
	s_or_b64 s[58:59], s[0:1], s[12:13]
.LBB18_929:
	s_or_b64 exec, exec, s[62:63]
	s_andn2_b64 s[0:1], s[52:53], exec
	s_and_b64 s[12:13], s[60:61], exec
	s_or_b64 s[52:53], s[0:1], s[12:13]
	s_and_b64 s[0:1], s[10:11], exec
	s_and_b64 s[10:11], s[8:9], exec
	;; [unrolled: 1-line block ×3, first 2 shown]
	s_andn2_b64 s[2:3], s[54:55], exec
	s_and_b64 s[8:9], s[58:59], exec
	s_or_b64 s[54:55], s[2:3], s[8:9]
	s_or_b64 exec, exec, s[56:57]
	s_mov_b64 s[2:3], 0
	s_and_saveexec_b64 s[8:9], s[54:55]
	s_cbranch_execz .LBB18_278
.LBB18_930:
	s_mov_b64 s[2:3], exec
	s_andn2_b64 s[60:61], s[60:61], exec
	s_trap 2
	s_or_b64 exec, exec, s[8:9]
	s_and_saveexec_b64 s[8:9], s[60:61]
	s_xor_b64 s[8:9], exec, s[8:9]
	s_cbranch_execnz .LBB18_279
.LBB18_931:
	s_or_b64 exec, exec, s[8:9]
	s_and_saveexec_b64 s[8:9], s[10:11]
	s_cbranch_execz .LBB18_977
.LBB18_932:
	s_sext_i32_i16 s10, s74
	s_cmp_lt_i32 s10, 5
	s_cbranch_scc1 .LBB18_937
; %bb.933:
	s_cmp_lt_i32 s10, 8
	s_cbranch_scc1 .LBB18_938
; %bb.934:
	;; [unrolled: 3-line block ×3, first 2 shown]
	s_cmp_gt_i32 s10, 9
	s_cbranch_scc0 .LBB18_940
; %bb.936:
	global_load_dwordx2 v[3:4], v[1:2], off
	s_mov_b64 s[10:11], 0
	s_waitcnt vmcnt(0)
	v_cvt_f32_f64_e32 v5, v[3:4]
	s_branch .LBB18_941
.LBB18_937:
                                        ; implicit-def: $vgpr5
	s_branch .LBB18_958
.LBB18_938:
                                        ; implicit-def: $vgpr5
	s_branch .LBB18_947
.LBB18_939:
	s_mov_b64 s[10:11], -1
                                        ; implicit-def: $vgpr5
	s_branch .LBB18_944
.LBB18_940:
	s_mov_b64 s[10:11], -1
                                        ; implicit-def: $vgpr5
.LBB18_941:
	s_andn2_b64 vcc, exec, s[10:11]
	s_cbranch_vccnz .LBB18_943
; %bb.942:
	global_load_dword v5, v[1:2], off
.LBB18_943:
	s_mov_b64 s[10:11], 0
.LBB18_944:
	s_andn2_b64 vcc, exec, s[10:11]
	s_cbranch_vccnz .LBB18_946
; %bb.945:
	global_load_dword v3, v[1:2], off
	s_waitcnt vmcnt(0)
	v_cvt_f32_f16_e32 v5, v3
.LBB18_946:
	s_cbranch_execnz .LBB18_957
.LBB18_947:
	s_sext_i32_i16 s10, s74
	s_cmp_lt_i32 s10, 6
	s_cbranch_scc1 .LBB18_950
; %bb.948:
	s_cmp_gt_i32 s10, 6
	s_cbranch_scc0 .LBB18_951
; %bb.949:
	global_load_dwordx2 v[3:4], v[1:2], off
	s_mov_b64 s[10:11], 0
	s_waitcnt vmcnt(0)
	v_cvt_f32_f64_e32 v5, v[3:4]
	s_branch .LBB18_952
.LBB18_950:
	s_mov_b64 s[10:11], -1
                                        ; implicit-def: $vgpr5
	s_branch .LBB18_955
.LBB18_951:
	s_mov_b64 s[10:11], -1
                                        ; implicit-def: $vgpr5
.LBB18_952:
	s_andn2_b64 vcc, exec, s[10:11]
	s_cbranch_vccnz .LBB18_954
; %bb.953:
	global_load_dword v5, v[1:2], off
.LBB18_954:
	s_mov_b64 s[10:11], 0
.LBB18_955:
	s_andn2_b64 vcc, exec, s[10:11]
	s_cbranch_vccnz .LBB18_957
; %bb.956:
	global_load_ushort v3, v[1:2], off
	s_waitcnt vmcnt(0)
	v_cvt_f32_f16_e32 v5, v3
.LBB18_957:
	s_cbranch_execnz .LBB18_976
.LBB18_958:
	s_sext_i32_i16 s10, s74
	s_cmp_lt_i32 s10, 2
	s_cbranch_scc1 .LBB18_962
; %bb.959:
	s_cmp_lt_i32 s10, 3
	s_cbranch_scc1 .LBB18_963
; %bb.960:
	s_cmp_gt_i32 s10, 3
	s_cbranch_scc0 .LBB18_964
; %bb.961:
	global_load_dwordx2 v[3:4], v[1:2], off
	s_mov_b64 s[10:11], 0
	s_waitcnt vmcnt(0)
	v_xor_b32_e32 v6, v3, v4
	v_ffbh_i32_e32 v5, v4
	v_ashrrev_i32_e32 v6, 31, v6
	v_add_u32_e32 v5, -1, v5
	v_add_u32_e32 v6, 32, v6
	v_min_u32_e32 v5, v5, v6
	v_lshlrev_b64 v[3:4], v5, v[3:4]
	v_min_u32_e32 v3, 1, v3
	v_or_b32_e32 v3, v4, v3
	v_cvt_f32_i32_e32 v3, v3
	v_sub_u32_e32 v4, 32, v5
	v_ldexp_f32 v5, v3, v4
	s_branch .LBB18_965
.LBB18_962:
                                        ; implicit-def: $vgpr5
	s_branch .LBB18_971
.LBB18_963:
	s_mov_b64 s[10:11], -1
                                        ; implicit-def: $vgpr5
	s_branch .LBB18_968
.LBB18_964:
	s_mov_b64 s[10:11], -1
                                        ; implicit-def: $vgpr5
.LBB18_965:
	s_andn2_b64 vcc, exec, s[10:11]
	s_cbranch_vccnz .LBB18_967
; %bb.966:
	global_load_dword v3, v[1:2], off
	s_waitcnt vmcnt(0)
	v_cvt_f32_i32_e32 v5, v3
.LBB18_967:
	s_mov_b64 s[10:11], 0
.LBB18_968:
	s_andn2_b64 vcc, exec, s[10:11]
	s_cbranch_vccnz .LBB18_970
; %bb.969:
	global_load_sshort v3, v[1:2], off
	s_waitcnt vmcnt(0)
	v_cvt_f32_i32_e32 v5, v3
.LBB18_970:
	s_cbranch_execnz .LBB18_976
.LBB18_971:
	s_sext_i32_i16 s10, s74
	s_cmp_gt_i32 s10, 0
	s_cbranch_scc0 .LBB18_973
; %bb.972:
	global_load_sbyte v3, v[1:2], off
	s_mov_b64 s[10:11], 0
	s_waitcnt vmcnt(0)
	v_cvt_f32_i32_e32 v5, v3
	s_branch .LBB18_974
.LBB18_973:
	s_mov_b64 s[10:11], -1
                                        ; implicit-def: $vgpr5
.LBB18_974:
	s_andn2_b64 vcc, exec, s[10:11]
	s_cbranch_vccnz .LBB18_976
; %bb.975:
	global_load_ubyte v1, v[1:2], off
	s_waitcnt vmcnt(0)
	v_cvt_f32_ubyte0_e32 v5, v1
.LBB18_976:
	s_or_b64 s[0:1], s[0:1], exec
.LBB18_977:
	s_or_b64 exec, exec, s[8:9]
	s_mov_b64 s[12:13], 0
	s_mov_b64 s[10:11], 0
                                        ; implicit-def: $sgpr18
                                        ; implicit-def: $vgpr3_vgpr4
                                        ; implicit-def: $vgpr1
	s_and_saveexec_b64 s[8:9], s[0:1]
	s_cbranch_execz .LBB18_999
; %bb.978:
	s_mov_b32 s0, 0x41000000
	s_waitcnt vmcnt(0)
	v_cmp_le_f32_e64 s[0:1], |v5|, s0
                                        ; implicit-def: $vgpr1
	s_and_saveexec_b64 s[10:11], s[0:1]
	s_xor_b64 s[0:1], exec, s[10:11]
	s_cbranch_execz .LBB18_980
; %bb.979:
	v_fma_f32 v1, |v5|, 0.5, -2.0
	v_mov_b32_e32 v2, 0x24199b15
	v_fmac_f32_e32 v2, 0xa2a2e5b9, v1
	v_mov_b32_e32 v3, 0x22a2e5b9
	v_fmac_f32_e32 v3, v1, v2
	v_add_f32_e32 v3, 0xa58c275c, v3
	v_fma_f32 v2, v1, v3, -v2
	v_add_f32_e32 v2, 0x26f736c5, v2
	v_fma_f32 v3, v1, v2, -v3
	;; [unrolled: 2-line block ×22, first 2 shown]
	v_add_f32_e32 v3, 0xbcc274f8, v3
	s_mov_b32 s10, 0x3fb8aa3b
	v_fma_f32 v2, v1, v3, -v2
	v_mul_f32_e64 v4, |v5|, s10
	v_add_f32_e32 v2, 0x3d49f456, v2
	v_rndne_f32_e32 v6, v4
	v_fma_f32 v3, v1, v2, -v3
	v_sub_f32_e32 v7, v4, v6
	v_fma_f32 v4, |v5|, s10, -v4
	s_mov_b32 s10, 0x32a5705f
	v_add_f32_e32 v3, 0xbdc25b82, v3
	v_fma_f32 v4, |v5|, s10, v4
	v_fma_f32 v2, v1, v3, -v2
	v_add_f32_e32 v4, v7, v4
	v_add_f32_e32 v2, 0x3e2fbd64, v2
	v_exp_f32_e32 v4, v4
	v_cvt_i32_f32_e32 v6, v6
	v_fma_f32 v3, v1, v2, -v3
	v_add_f32_e32 v3, 0xbe9bff5e, v3
	v_fma_f32 v1, v1, v3, -v2
	s_mov_b32 s10, 0xc2ce8ed0
	v_add_f32_e32 v1, 0x3f2d4275, v1
	v_ldexp_f32 v3, v4, v6
	v_cmp_nlt_f32_e64 vcc, |v5|, s10
	s_mov_b32 s10, 0x42b17218
	v_cndmask_b32_e32 v3, 0, v3, vcc
	v_mov_b32_e32 v4, 0x7f800000
	v_cmp_ngt_f32_e64 vcc, |v5|, s10
	v_sub_f32_e32 v1, v1, v2
	v_cndmask_b32_e32 v3, v4, v3, vcc
	v_mul_f32_e32 v1, 0.5, v1
	v_mul_f32_e32 v1, v3, v1
                                        ; implicit-def: $vgpr5
.LBB18_980:
	s_andn2_saveexec_b64 s[10:11], s[0:1]
	s_cbranch_execz .LBB18_982
; %bb.981:
	v_and_b32_e32 v1, 0x7fffffff, v5
	s_mov_b32 s12, 0x42000000
	v_div_scale_f32 v2, s[0:1], v1, v1, s12
	v_div_scale_f32 v1, vcc, s12, v1, s12
	v_mov_b32_e32 v3, 0xa2b236d3
	v_mov_b32_e32 v4, 0x23056dbb
	s_mov_b32 s0, 0x3fb8aa3b
	v_mul_f32_e64 v6, |v5|, s0
	s_mov_b32 s1, 0x32a5705f
	s_mov_b32 s15, 0xf800000
	s_mov_b32 s16, 0x4f800000
	v_rndne_f32_e32 v9, v6
	v_fma_f32 v10, |v5|, s0, -v6
	v_mul_f32_e64 v8, |v5|, s16
	v_sub_f32_e32 v6, v6, v9
	s_mov_b32 s13, 0xc2ce8ed0
	v_rcp_f32_e32 v7, v2
	s_mov_b32 s14, 0x42b17218
	v_fma_f32 v11, -v2, v7, 1.0
	v_fmac_f32_e32 v7, v11, v7
	v_mul_f32_e32 v11, v1, v7
	v_fma_f32 v12, -v2, v11, v1
	v_fmac_f32_e32 v11, v12, v7
	v_fma_f32 v1, -v2, v11, v1
	v_div_fmas_f32 v1, v1, v7, v11
	v_cmp_lt_f32_e64 vcc, |v5|, s15
	v_fma_f32 v7, |v5|, s1, v10
	v_cndmask_b32_e64 v2, |v5|, v8, vcc
	v_add_f32_e32 v6, v6, v7
	v_cvt_i32_f32_e32 v8, v9
	v_sqrt_f32_e32 v9, v2
	v_exp_f32_e32 v6, v6
	v_cmp_nlt_f32_e64 s[0:1], |v5|, s13
	v_mov_b32_e32 v7, 0x7f800000
	v_add_u32_e32 v10, -1, v9
	v_ldexp_f32 v6, v6, v8
	v_fma_f32 v11, -v10, v9, v2
	v_cndmask_b32_e64 v6, 0, v6, s[0:1]
	v_cmp_ngt_f32_e64 s[0:1], |v5|, s14
	v_cndmask_b32_e64 v6, v7, v6, s[0:1]
	v_div_fixup_f32 v1, v1, |v5|, s12
	v_add_f32_e32 v1, -2.0, v1
	v_fmac_f32_e32 v3, 0xa3056dbb, v1
	v_fmac_f32_e32 v4, v1, v3
	v_add_f32_e32 v4, 0x244df0c1, v4
	v_fma_f32 v3, v1, v4, -v3
	v_add_f32_e32 v3, 0x241f9ee8, v3
	v_fma_f32 v4, v1, v3, -v4
	;; [unrolled: 2-line block ×22, first 2 shown]
	v_add_f32_e32 v1, 0x3f4df315, v1
	v_sub_f32_e32 v1, v1, v4
	v_add_u32_e32 v4, 1, v9
	v_cmp_ge_f32_e64 s[0:1], 0, v11
	v_fma_f32 v5, -v4, v9, v2
	v_cndmask_b32_e64 v3, v9, v10, s[0:1]
	v_cmp_lt_f32_e64 s[0:1], 0, v5
	v_cndmask_b32_e64 v3, v3, v4, s[0:1]
	v_mul_f32_e32 v4, 0x37800000, v3
	v_cndmask_b32_e32 v3, v3, v4, vcc
	v_mov_b32_e32 v4, 0x260
	v_mul_f32_e32 v1, 0.5, v1
	v_cmp_class_f32_e32 vcc, v2, v4
	v_mul_f32_e32 v1, v6, v1
	v_cndmask_b32_e32 v2, v3, v2, vcc
	v_div_scale_f32 v3, s[0:1], v2, v2, v1
	v_div_scale_f32 v4, vcc, v1, v2, v1
	v_rcp_f32_e32 v5, v3
	v_fma_f32 v6, -v3, v5, 1.0
	v_fmac_f32_e32 v5, v6, v5
	v_mul_f32_e32 v6, v4, v5
	v_fma_f32 v7, -v3, v6, v4
	v_fmac_f32_e32 v6, v7, v5
	v_fma_f32 v3, -v3, v6, v4
	v_div_fmas_f32 v3, v3, v5, v6
	v_div_fixup_f32 v1, v3, v2, v1
.LBB18_982:
	s_or_b64 exec, exec, s[10:11]
	s_waitcnt lgkmcnt(0)
	v_mov_b32_e32 v2, s25
	s_and_b32 s18, s73, 0xff
	v_add_co_u32_e32 v3, vcc, s24, v0
	s_cmp_lt_i32 s18, 11
	v_addc_co_u32_e32 v4, vcc, 0, v2, vcc
	s_cbranch_scc1 .LBB18_1002
; %bb.983:
	s_and_b32 s19, 0xffff, s18
	s_mov_b64 s[12:13], -1
	s_cmp_gt_i32 s19, 25
	s_mov_b64 s[0:1], s[52:53]
	s_cbranch_scc0 .LBB18_1020
; %bb.984:
	s_mov_b64 s[10:11], -1
	s_cmp_gt_i32 s19, 28
	s_mov_b64 s[0:1], s[52:53]
	s_cbranch_scc0 .LBB18_1004
; %bb.985:
	s_cmp_gt_i32 s19, 43
	s_mov_b64 s[0:1], s[52:53]
	s_cbranch_scc0 .LBB18_996
; %bb.986:
	;; [unrolled: 4-line block ×3, first 2 shown]
	s_cmp_eq_u32 s19, 46
	s_mov_b64 s[0:1], -1
	s_cbranch_scc0 .LBB18_989
; %bb.988:
	v_bfe_u32 v0, v1, 16, 1
	s_movk_i32 s0, 0x7fff
	v_add3_u32 v0, v1, v0, s0
	v_cmp_o_f32_e32 vcc, v1, v1
	v_mov_b32_e32 v2, 0x7fc0
	v_cndmask_b32_sdwa v0, v2, v0, vcc dst_sel:DWORD dst_unused:UNUSED_PAD src0_sel:DWORD src1_sel:WORD_1
	global_store_dword v[3:4], v0, off
	s_mov_b64 s[0:1], 0
.LBB18_989:
	s_mov_b64 s[10:11], 0
.LBB18_990:
	s_and_b64 vcc, exec, s[10:11]
	s_cbranch_vccz .LBB18_995
; %bb.991:
	s_cmp_eq_u32 s19, 44
	s_mov_b64 s[0:1], -1
	s_cbranch_scc0 .LBB18_995
; %bb.992:
	v_bfe_u32 v0, v1, 23, 8
	s_movk_i32 s0, 0xff
	v_cmp_ne_u32_e32 vcc, s0, v0
	v_mov_b32_e32 v2, 0xff
	s_and_saveexec_b64 s[10:11], vcc
; %bb.993:
	s_mov_b32 s0, 0x3fffff
	v_and_b32_e32 v5, 0x400000, v1
	v_and_or_b32 v0, v1, s0, v0
	v_cmp_ne_u32_e32 vcc, 0, v5
	v_cmp_ne_u32_e64 s[0:1], 0, v0
	s_and_b64 s[0:1], vcc, s[0:1]
	v_lshrrev_b32_e32 v2, 23, v1
	v_cndmask_b32_e64 v0, 0, 1, s[0:1]
	v_add_u32_e32 v2, v2, v0
; %bb.994:
	s_or_b64 exec, exec, s[10:11]
	s_mov_b64 s[0:1], 0
	global_store_byte v[3:4], v2, off
.LBB18_995:
	s_mov_b64 s[10:11], 0
.LBB18_996:
	s_and_b64 vcc, exec, s[10:11]
	s_cbranch_vccz .LBB18_1003
; %bb.997:
	s_cmp_eq_u32 s19, 29
	s_mov_b64 s[0:1], -1
	s_cbranch_scc0 .LBB18_1003
; %bb.998:
	v_trunc_f32_e32 v0, v1
	v_mul_f32_e32 v2, 0x2f800000, v0
	v_floor_f32_e32 v2, v2
	v_fmac_f32_e32 v0, 0xcf800000, v2
	v_cvt_u32_f32_e32 v6, v2
	v_cvt_u32_f32_e32 v5, v0
	s_mov_b64 s[0:1], 0
	s_mov_b64 s[10:11], 0
	global_store_dwordx2 v[3:4], v[5:6], off
	s_branch .LBB18_1004
.LBB18_999:
	s_or_b64 exec, exec, s[8:9]
	s_and_saveexec_b64 s[0:1], s[52:53]
	s_cbranch_execnz .LBB18_1062
.LBB18_1000:
	s_or_b64 exec, exec, s[0:1]
	s_and_saveexec_b64 s[0:1], s[12:13]
	s_xor_b64 s[0:1], exec, s[0:1]
	s_cbranch_execz .LBB18_1063
.LBB18_1001:
	v_cmp_neq_f32_e32 vcc, 0, v1
	v_cndmask_b32_e64 v0, 0, 1, vcc
	s_waitcnt vmcnt(0)
	global_store_byte v[3:4], v0, off
	s_or_b64 exec, exec, s[0:1]
	s_and_saveexec_b64 s[0:1], s[10:11]
	s_xor_b64 s[0:1], exec, s[0:1]
	s_cbranch_execz .LBB18_1101
	s_branch .LBB18_1064
.LBB18_1002:
	s_mov_b64 s[12:13], 0
	s_mov_b64 s[10:11], -1
	s_mov_b64 s[0:1], s[52:53]
	s_branch .LBB18_1061
.LBB18_1003:
	s_mov_b64 s[10:11], 0
.LBB18_1004:
	s_and_b64 vcc, exec, s[10:11]
	s_cbranch_vccz .LBB18_1019
; %bb.1005:
	s_cmp_lt_i32 s19, 27
	s_mov_b64 s[10:11], -1
	s_cbranch_scc1 .LBB18_1011
; %bb.1006:
	s_cmp_gt_i32 s19, 27
	s_cbranch_scc0 .LBB18_1008
; %bb.1007:
	v_cvt_u32_f32_e32 v0, v1
	s_mov_b64 s[10:11], 0
	global_store_dword v[3:4], v0, off
.LBB18_1008:
	s_andn2_b64 vcc, exec, s[10:11]
	s_cbranch_vccnz .LBB18_1010
; %bb.1009:
	v_cvt_u32_f32_e32 v0, v1
	global_store_short v[3:4], v0, off
.LBB18_1010:
	s_mov_b64 s[10:11], 0
.LBB18_1011:
	s_andn2_b64 vcc, exec, s[10:11]
	s_cbranch_vccnz .LBB18_1019
; %bb.1012:
	v_and_b32_e32 v0, 0x7fffffff, v1
	s_mov_b32 s10, 0x43800000
	v_cmp_gt_u32_e32 vcc, s10, v0
	v_mov_b32_e32 v2, 0x80
	s_and_saveexec_b64 s[10:11], vcc
	s_cbranch_execz .LBB18_1018
; %bb.1013:
	s_mov_b32 s12, 0x3bffffff
	v_cmp_lt_u32_e32 vcc, s12, v0
	s_mov_b64 s[12:13], 0
                                        ; implicit-def: $vgpr0
	s_and_saveexec_b64 s[14:15], vcc
	s_xor_b64 s[14:15], exec, s[14:15]
	s_cbranch_execz .LBB18_1172
; %bb.1014:
	v_bfe_u32 v0, v1, 20, 1
	s_mov_b32 s16, 0x487ffff
	v_add3_u32 v0, v1, v0, s16
	s_mov_b64 s[12:13], exec
	v_lshrrev_b32_e32 v0, 20, v0
	s_andn2_saveexec_b64 s[14:15], s[14:15]
	s_cbranch_execnz .LBB18_1173
.LBB18_1015:
	s_or_b64 exec, exec, s[14:15]
	v_mov_b32_e32 v2, 0
	s_and_saveexec_b64 s[14:15], s[12:13]
.LBB18_1016:
	v_lshrrev_b32_e32 v2, 24, v1
	s_movk_i32 s12, 0x80
	v_and_or_b32 v2, v2, s12, v0
.LBB18_1017:
	s_or_b64 exec, exec, s[14:15]
.LBB18_1018:
	s_or_b64 exec, exec, s[10:11]
	global_store_byte v[3:4], v2, off
.LBB18_1019:
	s_mov_b64 s[12:13], 0
.LBB18_1020:
	s_mov_b64 s[10:11], 0
	s_and_b64 vcc, exec, s[12:13]
	s_cbranch_vccz .LBB18_1060
; %bb.1021:
	s_cmp_gt_i32 s19, 22
	s_mov_b64 s[12:13], -1
	s_cbranch_scc0 .LBB18_1053
; %bb.1022:
	s_cmp_lt_i32 s19, 24
	s_cbranch_scc1 .LBB18_1042
; %bb.1023:
	s_cmp_gt_i32 s19, 24
	s_cbranch_scc0 .LBB18_1031
; %bb.1024:
	v_and_b32_e32 v0, 0x7fffffff, v1
	s_mov_b32 s12, 0x47800000
	v_cmp_gt_u32_e32 vcc, s12, v0
	v_mov_b32_e32 v2, 0x80
	s_and_saveexec_b64 s[12:13], vcc
	s_cbranch_execz .LBB18_1030
; %bb.1025:
	s_mov_b32 s14, 0x37ffffff
	v_cmp_lt_u32_e32 vcc, s14, v0
	s_mov_b64 s[14:15], 0
                                        ; implicit-def: $vgpr0
	s_and_saveexec_b64 s[16:17], vcc
	s_xor_b64 s[16:17], exec, s[16:17]
	s_cbranch_execz .LBB18_1301
; %bb.1026:
	v_bfe_u32 v0, v1, 21, 1
	s_mov_b32 s20, 0x88fffff
	v_add3_u32 v0, v1, v0, s20
	s_mov_b64 s[14:15], exec
	v_lshrrev_b32_e32 v0, 21, v0
	s_andn2_saveexec_b64 s[16:17], s[16:17]
	s_cbranch_execnz .LBB18_1302
.LBB18_1027:
	s_or_b64 exec, exec, s[16:17]
	v_mov_b32_e32 v2, 0
	s_and_saveexec_b64 s[16:17], s[14:15]
.LBB18_1028:
	v_lshrrev_b32_e32 v2, 24, v1
	s_movk_i32 s14, 0x80
	v_and_or_b32 v2, v2, s14, v0
.LBB18_1029:
	s_or_b64 exec, exec, s[16:17]
.LBB18_1030:
	s_or_b64 exec, exec, s[12:13]
	s_mov_b64 s[12:13], 0
	global_store_byte v[3:4], v2, off
.LBB18_1031:
	s_and_b64 vcc, exec, s[12:13]
	s_cbranch_vccz .LBB18_1041
; %bb.1032:
	v_and_b32_e32 v2, 0x7fffffff, v1
	s_mov_b32 s12, 0x43f00000
	v_cmp_gt_u32_e32 vcc, s12, v2
                                        ; implicit-def: $vgpr0
	s_and_saveexec_b64 s[12:13], vcc
	s_xor_b64 s[12:13], exec, s[12:13]
	s_cbranch_execz .LBB18_1038
; %bb.1033:
	s_mov_b32 s14, 0x3c7fffff
	v_cmp_lt_u32_e32 vcc, s14, v2
                                        ; implicit-def: $vgpr0
	s_and_saveexec_b64 s[14:15], vcc
	s_xor_b64 s[14:15], exec, s[14:15]
; %bb.1034:
	v_bfe_u32 v0, v1, 20, 1
	s_mov_b32 s16, 0x407ffff
	v_add3_u32 v0, v1, v0, s16
	v_lshrrev_b32_e32 v2, 20, v0
	v_and_b32_e32 v0, 0xff00000, v0
	s_mov_b32 s16, 0x7f00000
	v_mov_b32_e32 v5, 0x7e
	v_cmp_ne_u32_e32 vcc, s16, v0
	v_cndmask_b32_e32 v0, v5, v2, vcc
; %bb.1035:
	s_andn2_saveexec_b64 s[14:15], s[14:15]
; %bb.1036:
	s_mov_b32 s16, 0x46800000
	v_add_f32_e64 v0, |v1|, s16
; %bb.1037:
	s_or_b64 exec, exec, s[14:15]
                                        ; implicit-def: $vgpr2
.LBB18_1038:
	s_andn2_saveexec_b64 s[12:13], s[12:13]
; %bb.1039:
	s_mov_b32 s14, 0x7f800000
	v_mov_b32_e32 v0, 0x7e
	v_mov_b32_e32 v5, 0x7f
	v_cmp_lt_u32_e32 vcc, s14, v2
	v_cndmask_b32_e32 v0, v0, v5, vcc
; %bb.1040:
	s_or_b64 exec, exec, s[12:13]
	v_lshrrev_b32_e32 v2, 24, v1
	s_movk_i32 s12, 0x80
	v_and_or_b32 v0, v2, s12, v0
	global_store_byte v[3:4], v0, off
.LBB18_1041:
	s_mov_b64 s[12:13], 0
.LBB18_1042:
	s_andn2_b64 vcc, exec, s[12:13]
	s_cbranch_vccnz .LBB18_1052
; %bb.1043:
	v_and_b32_e32 v2, 0x7fffffff, v1
	s_mov_b32 s12, 0x47800000
	v_cmp_gt_u32_e32 vcc, s12, v2
                                        ; implicit-def: $vgpr0
	s_and_saveexec_b64 s[12:13], vcc
	s_xor_b64 s[12:13], exec, s[12:13]
	s_cbranch_execz .LBB18_1049
; %bb.1044:
	s_mov_b32 s14, 0x387fffff
	v_cmp_lt_u32_e32 vcc, s14, v2
                                        ; implicit-def: $vgpr0
	s_and_saveexec_b64 s[14:15], vcc
	s_xor_b64 s[14:15], exec, s[14:15]
; %bb.1045:
	v_bfe_u32 v0, v1, 21, 1
	s_mov_b32 s16, 0x80fffff
	v_add3_u32 v0, v1, v0, s16
	v_lshrrev_b32_e32 v0, 21, v0
; %bb.1046:
	s_andn2_saveexec_b64 s[14:15], s[14:15]
; %bb.1047:
	s_mov_b32 s16, 0x43000000
	v_add_f32_e64 v0, |v1|, s16
; %bb.1048:
	s_or_b64 exec, exec, s[14:15]
                                        ; implicit-def: $vgpr2
.LBB18_1049:
	s_andn2_saveexec_b64 s[12:13], s[12:13]
; %bb.1050:
	s_mov_b32 s14, 0x7f800000
	v_mov_b32_e32 v0, 0x7c
	v_mov_b32_e32 v5, 0x7f
	v_cmp_lt_u32_e32 vcc, s14, v2
	v_cndmask_b32_e32 v0, v0, v5, vcc
; %bb.1051:
	s_or_b64 exec, exec, s[12:13]
	v_lshrrev_b32_e32 v2, 24, v1
	s_movk_i32 s12, 0x80
	v_and_or_b32 v0, v2, s12, v0
	global_store_byte v[3:4], v0, off
.LBB18_1052:
	s_mov_b64 s[12:13], 0
.LBB18_1053:
	s_andn2_b64 vcc, exec, s[12:13]
	s_mov_b64 s[12:13], 0
	s_cbranch_vccnz .LBB18_1061
; %bb.1054:
	s_cmp_gt_i32 s19, 14
	s_mov_b64 s[14:15], -1
	s_cbranch_scc0 .LBB18_1058
; %bb.1055:
	s_cmp_eq_u32 s19, 15
	s_mov_b64 s[0:1], -1
	s_cbranch_scc0 .LBB18_1057
; %bb.1056:
	v_bfe_u32 v0, v1, 16, 1
	s_movk_i32 s0, 0x7fff
	v_add3_u32 v0, v1, v0, s0
	v_cmp_o_f32_e32 vcc, v1, v1
	v_mov_b32_e32 v2, 0x7fc0
	v_cndmask_b32_sdwa v0, v2, v0, vcc dst_sel:DWORD dst_unused:UNUSED_PAD src0_sel:DWORD src1_sel:WORD_1
	global_store_short v[3:4], v0, off
	s_mov_b64 s[0:1], 0
.LBB18_1057:
	s_mov_b64 s[14:15], 0
.LBB18_1058:
	s_and_b64 vcc, exec, s[14:15]
	s_cbranch_vccz .LBB18_1061
; %bb.1059:
	s_cmp_lg_u32 s19, 11
	s_cselect_b64 s[14:15], -1, 0
	s_andn2_b64 s[0:1], s[0:1], exec
	s_and_b64 s[14:15], s[14:15], exec
	s_mov_b64 s[12:13], -1
	s_or_b64 s[0:1], s[0:1], s[14:15]
	s_branch .LBB18_1061
.LBB18_1060:
	s_mov_b64 s[12:13], 0
.LBB18_1061:
	s_andn2_b64 s[14:15], s[52:53], exec
	s_and_b64 s[0:1], s[0:1], exec
	s_and_b64 s[10:11], s[10:11], exec
	;; [unrolled: 1-line block ×3, first 2 shown]
	s_or_b64 s[52:53], s[14:15], s[0:1]
	s_or_b64 exec, exec, s[8:9]
	s_and_saveexec_b64 s[0:1], s[52:53]
	s_cbranch_execz .LBB18_1000
.LBB18_1062:
	s_or_b64 s[2:3], s[2:3], exec
	s_andn2_b64 s[12:13], s[12:13], exec
	s_trap 2
	s_or_b64 exec, exec, s[0:1]
	s_and_saveexec_b64 s[0:1], s[12:13]
	s_xor_b64 s[0:1], exec, s[0:1]
	s_cbranch_execnz .LBB18_1001
.LBB18_1063:
	s_or_b64 exec, exec, s[0:1]
	s_and_saveexec_b64 s[0:1], s[10:11]
	s_xor_b64 s[0:1], exec, s[0:1]
	s_cbranch_execz .LBB18_1101
.LBB18_1064:
	s_sext_i32_i16 s10, s18
	s_cmp_lt_i32 s10, 5
	s_mov_b64 s[8:9], -1
	s_cbranch_scc1 .LBB18_1085
; %bb.1065:
	s_cmp_lt_i32 s10, 8
	s_cbranch_scc1 .LBB18_1075
; %bb.1066:
	s_cmp_lt_i32 s10, 9
	s_cbranch_scc1 .LBB18_1072
; %bb.1067:
	s_cmp_gt_i32 s10, 9
	s_cbranch_scc0 .LBB18_1069
; %bb.1068:
	s_waitcnt vmcnt(0)
	v_cvt_f64_f32_e32 v[5:6], v1
	v_mov_b32_e32 v7, 0
	v_mov_b32_e32 v8, v7
	s_mov_b64 s[8:9], 0
	global_store_dwordx4 v[3:4], v[5:8], off
.LBB18_1069:
	s_andn2_b64 vcc, exec, s[8:9]
	s_cbranch_vccnz .LBB18_1071
; %bb.1070:
	v_mov_b32_e32 v2, 0
	s_waitcnt vmcnt(0)
	global_store_dwordx2 v[3:4], v[1:2], off
.LBB18_1071:
	s_mov_b64 s[8:9], 0
.LBB18_1072:
	s_andn2_b64 vcc, exec, s[8:9]
	s_cbranch_vccnz .LBB18_1074
; %bb.1073:
	v_cvt_f16_f32_e32 v0, v1
	s_waitcnt vmcnt(0)
	global_store_dword v[3:4], v0, off
.LBB18_1074:
	s_mov_b64 s[8:9], 0
.LBB18_1075:
	s_andn2_b64 vcc, exec, s[8:9]
	s_cbranch_vccnz .LBB18_1084
; %bb.1076:
	s_sext_i32_i16 s10, s18
	s_cmp_lt_i32 s10, 6
	s_mov_b64 s[8:9], -1
	s_cbranch_scc1 .LBB18_1082
; %bb.1077:
	s_cmp_gt_i32 s10, 6
	s_cbranch_scc0 .LBB18_1079
; %bb.1078:
	s_waitcnt vmcnt(0)
	v_cvt_f64_f32_e32 v[5:6], v1
	s_mov_b64 s[8:9], 0
	global_store_dwordx2 v[3:4], v[5:6], off
.LBB18_1079:
	s_andn2_b64 vcc, exec, s[8:9]
	s_cbranch_vccnz .LBB18_1081
; %bb.1080:
	s_waitcnt vmcnt(0)
	global_store_dword v[3:4], v1, off
.LBB18_1081:
	s_mov_b64 s[8:9], 0
.LBB18_1082:
	s_andn2_b64 vcc, exec, s[8:9]
	s_cbranch_vccnz .LBB18_1084
; %bb.1083:
	v_cvt_f16_f32_e32 v0, v1
	s_waitcnt vmcnt(0)
	global_store_short v[3:4], v0, off
.LBB18_1084:
	s_mov_b64 s[8:9], 0
.LBB18_1085:
	s_andn2_b64 vcc, exec, s[8:9]
	s_cbranch_vccnz .LBB18_1101
; %bb.1086:
	s_sext_i32_i16 s10, s18
	s_cmp_lt_i32 s10, 2
	s_mov_b64 s[8:9], -1
	s_cbranch_scc1 .LBB18_1096
; %bb.1087:
	s_cmp_lt_i32 s10, 3
	s_cbranch_scc1 .LBB18_1093
; %bb.1088:
	s_cmp_gt_i32 s10, 3
	s_cbranch_scc0 .LBB18_1090
; %bb.1089:
	v_trunc_f32_e32 v0, v1
	s_mov_b32 s8, 0x2f800000
	v_mul_f32_e64 v2, |v0|, s8
	v_floor_f32_e32 v2, v2
	s_mov_b32 s8, 0xcf800000
	s_waitcnt vmcnt(0)
	v_cvt_u32_f32_e32 v5, v2
	v_fma_f32 v2, v2, s8, |v0|
	v_cvt_u32_f32_e32 v2, v2
	v_ashrrev_i32_e32 v0, 31, v0
	v_xor_b32_e32 v6, v5, v0
	s_mov_b64 s[8:9], 0
	v_xor_b32_e32 v2, v2, v0
	v_sub_co_u32_e32 v5, vcc, v2, v0
	v_subb_co_u32_e32 v6, vcc, v6, v0, vcc
	global_store_dwordx2 v[3:4], v[5:6], off
.LBB18_1090:
	s_andn2_b64 vcc, exec, s[8:9]
	s_cbranch_vccnz .LBB18_1092
; %bb.1091:
	v_cvt_i32_f32_e32 v0, v1
	s_waitcnt vmcnt(0)
	global_store_dword v[3:4], v0, off
.LBB18_1092:
	s_mov_b64 s[8:9], 0
.LBB18_1093:
	s_andn2_b64 vcc, exec, s[8:9]
	s_cbranch_vccnz .LBB18_1095
; %bb.1094:
	v_cvt_i32_f32_e32 v0, v1
	s_waitcnt vmcnt(0)
	global_store_short v[3:4], v0, off
.LBB18_1095:
	s_mov_b64 s[8:9], 0
.LBB18_1096:
	s_andn2_b64 vcc, exec, s[8:9]
	s_cbranch_vccnz .LBB18_1101
; %bb.1097:
	s_sext_i32_i16 s8, s18
	s_cmp_gt_i32 s8, 0
	s_mov_b64 s[8:9], -1
	s_cbranch_scc0 .LBB18_1099
; %bb.1098:
	v_cvt_i32_f32_e32 v0, v1
	s_mov_b64 s[8:9], 0
	s_waitcnt vmcnt(0)
	global_store_byte v[3:4], v0, off
.LBB18_1099:
	s_andn2_b64 vcc, exec, s[8:9]
	s_cbranch_vccnz .LBB18_1101
; %bb.1100:
	v_trunc_f32_e32 v0, v1
	s_mov_b32 s8, 0x2f800000
	v_mul_f32_e64 v1, |v0|, s8
	v_floor_f32_e32 v1, v1
	s_mov_b32 s8, 0xcf800000
	v_fma_f32 v1, v1, s8, |v0|
	v_cvt_u32_f32_e32 v1, v1
	v_ashrrev_i32_e32 v0, 31, v0
	v_xor_b32_e32 v1, v1, v0
	v_sub_u32_e32 v0, v1, v0
	s_waitcnt vmcnt(0)
	global_store_byte v[3:4], v0, off
.LBB18_1101:
	s_or_b64 exec, exec, s[0:1]
	s_waitcnt lgkmcnt(0)
	s_and_b64 s[28:29], s[2:3], exec
                                        ; implicit-def: $vgpr15
                                        ; implicit-def: $vgpr8
.LBB18_1102:
	s_or_saveexec_b64 s[30:31], s[42:43]
	s_mov_b64 s[0:1], 0
                                        ; implicit-def: $vgpr0_vgpr1
                                        ; implicit-def: $sgpr14
                                        ; implicit-def: $vgpr7
	s_xor_b64 exec, exec, s[30:31]
	s_cbranch_execz .LBB18_1768
; %bb.1103:
	v_cndmask_b32_e64 v0, 0, 1, s[40:41]
	v_cmp_ne_u32_e64 s[0:1], 1, v0
	s_andn2_b64 vcc, exec, s[40:41]
	s_cbranch_vccnz .LBB18_1109
; %bb.1104:
	s_cmp_lg_u32 s33, 0
	s_mov_b32 s36, 0
	s_cbranch_scc0 .LBB18_1110
; %bb.1105:
	s_min_u32 s37, s72, 15
	s_add_i32 s37, s37, 1
	s_cmp_eq_u32 s72, 2
	s_cbranch_scc1 .LBB18_1111
; %bb.1106:
	s_and_b32 s36, s37, 28
	s_add_u32 s2, s34, 0xc4
	s_addc_u32 s3, s35, 0
	v_mov_b32_e32 v13, 0
	s_mov_b32 s38, 0
	s_mov_b64 s[6:7], s[34:35]
	v_mov_b32_e32 v6, 0
	v_mov_b32_e32 v0, v8
.LBB18_1107:                            ; =>This Inner Loop Header: Depth=1
	s_load_dwordx8 s[16:23], s[6:7], 0x4
	s_load_dwordx4 s[24:27], s[6:7], 0x24
	s_load_dwordx8 s[8:15], s[2:3], 0x0
	s_add_u32 s6, s6, 48
	s_addc_u32 s7, s7, 0
	s_waitcnt lgkmcnt(0)
	v_mul_hi_u32 v1, s17, v0
	s_add_i32 s38, s38, 4
	s_add_u32 s2, s2, 32
	s_addc_u32 s3, s3, 0
	v_add_u32_e32 v1, v0, v1
	v_lshrrev_b32_e32 v1, s18, v1
	v_mul_lo_u32 v2, v1, s16
	s_waitcnt vmcnt(0)
	v_mul_hi_u32 v3, s20, v1
	s_cmp_lg_u32 s36, s38
	v_sub_u32_e32 v0, v0, v2
	v_add_u32_e32 v2, v1, v3
	v_mul_lo_u32 v3, v0, s8
	v_mul_lo_u32 v4, v0, s9
	v_lshrrev_b32_e32 v0, s21, v2
	v_mul_lo_u32 v2, v0, s19
	v_mul_hi_u32 v5, s23, v0
	v_sub_u32_e32 v1, v1, v2
	v_add_u32_e32 v2, v0, v5
	v_lshrrev_b32_e32 v2, s24, v2
	v_mul_hi_u32 v7, s26, v2
	v_mul_lo_u32 v9, v2, s22
	v_mul_lo_u32 v5, v1, s10
	;; [unrolled: 1-line block ×3, first 2 shown]
	v_sub_u32_e32 v9, v0, v9
	v_add_u32_e32 v0, v2, v7
	v_lshrrev_b32_e32 v0, s27, v0
	v_mul_lo_u32 v7, v0, s25
	v_mul_lo_u32 v10, v9, s12
	;; [unrolled: 1-line block ×3, first 2 shown]
	v_add3_u32 v3, v3, v6, v5
	v_sub_u32_e32 v2, v2, v7
	v_mul_lo_u32 v7, v2, s14
	v_mul_lo_u32 v2, v2, s15
	v_add3_u32 v1, v4, v13, v1
	v_add3_u32 v6, v10, v3, v7
	;; [unrolled: 1-line block ×3, first 2 shown]
	s_cbranch_scc1 .LBB18_1107
; %bb.1108:
	s_and_b32 s8, s37, 3
	s_cmp_eq_u32 s8, 0
	s_cbranch_scc0 .LBB18_1112
	s_branch .LBB18_1114
.LBB18_1109:
                                        ; implicit-def: $vgpr6
                                        ; implicit-def: $vgpr13
	s_branch .LBB18_1115
.LBB18_1110:
	v_mov_b32_e32 v6, 0
	v_mov_b32_e32 v13, 0
	s_branch .LBB18_1114
.LBB18_1111:
	v_mov_b32_e32 v6, 0
	v_mov_b32_e32 v13, 0
	;; [unrolled: 1-line block ×3, first 2 shown]
	s_and_b32 s8, s37, 3
	s_cmp_eq_u32 s8, 0
	s_cbranch_scc1 .LBB18_1114
.LBB18_1112:
	s_lshl_b32 s2, s36, 3
	s_add_u32 s2, s34, s2
	s_addc_u32 s3, s35, 0
	s_add_u32 s2, s2, 0xc4
	s_addc_u32 s3, s3, 0
	s_mul_i32 s6, s36, 12
	s_add_u32 s6, s34, s6
	s_addc_u32 s7, s35, 0
.LBB18_1113:                            ; =>This Inner Loop Header: Depth=1
	s_load_dwordx2 s[10:11], s[6:7], 0x4
	s_load_dword s9, s[6:7], 0xc
	s_load_dwordx2 s[12:13], s[2:3], 0x0
	s_add_u32 s6, s6, 12
	s_addc_u32 s7, s7, 0
	s_waitcnt lgkmcnt(0)
	v_mul_hi_u32 v1, s11, v0
	s_add_u32 s2, s2, 8
	s_addc_u32 s3, s3, 0
	s_add_i32 s8, s8, -1
	v_add_u32_e32 v1, v0, v1
	v_lshrrev_b32_e32 v1, s9, v1
	v_mul_lo_u32 v2, v1, s10
	s_cmp_lg_u32 s8, 0
	v_sub_u32_e32 v0, v0, v2
	v_mad_u64_u32 v[6:7], s[10:11], v0, s12, v[6:7]
	v_mad_u64_u32 v[13:14], s[10:11], v0, s13, v[13:14]
	v_mov_b32_e32 v0, v1
	s_cbranch_scc1 .LBB18_1113
.LBB18_1114:
	s_cbranch_execnz .LBB18_1117
.LBB18_1115:
	s_load_dwordx4 s[8:11], s[34:35], 0x4
	s_load_dwordx2 s[2:3], s[34:35], 0xc4
	s_cmp_lt_u32 s33, 2
	s_waitcnt lgkmcnt(0)
	v_mul_hi_u32 v0, s9, v8
	v_add_u32_e32 v0, v8, v0
	v_lshrrev_b32_e32 v0, s10, v0
	v_mul_lo_u32 v1, v0, s8
	v_sub_u32_e32 v1, v8, v1
	v_mul_lo_u32 v6, v1, s2
	v_mul_lo_u32 v13, v1, s3
	s_cbranch_scc1 .LBB18_1117
; %bb.1116:
	s_load_dwordx4 s[8:11], s[34:35], 0x10
	s_load_dwordx2 s[2:3], s[34:35], 0xcc
	s_waitcnt lgkmcnt(0)
	v_mul_hi_u32 v1, s9, v0
	v_add_u32_e32 v1, v0, v1
	v_lshrrev_b32_e32 v1, s10, v1
	v_mul_lo_u32 v1, v1, s8
	v_sub_u32_e32 v0, v0, v1
	v_mad_u64_u32 v[6:7], s[6:7], v0, s2, v[6:7]
	v_mad_u64_u32 v[13:14], s[2:3], v0, s3, v[13:14]
.LBB18_1117:
	s_and_b64 vcc, exec, s[0:1]
	v_add_u32_e32 v0, 0x80, v8
	s_cbranch_vccnz .LBB18_1123
; %bb.1118:
	s_cmp_lg_u32 s33, 0
	s_mov_b32 s36, 0
	s_cbranch_scc0 .LBB18_1124
; %bb.1119:
	s_min_u32 s37, s72, 15
	s_add_i32 s37, s37, 1
	s_cmp_eq_u32 s72, 2
	s_cbranch_scc1 .LBB18_1125
; %bb.1120:
	s_and_b32 s36, s37, 28
	s_add_u32 s2, s34, 0xc4
	s_addc_u32 s3, s35, 0
	v_mov_b32_e32 v11, 0
	s_mov_b32 s38, 0
	s_mov_b64 s[6:7], s[34:35]
	v_mov_b32_e32 v4, 0
	v_mov_b32_e32 v1, v0
.LBB18_1121:                            ; =>This Inner Loop Header: Depth=1
	s_load_dwordx8 s[16:23], s[6:7], 0x4
	s_load_dwordx4 s[24:27], s[6:7], 0x24
	s_load_dwordx8 s[8:15], s[2:3], 0x0
	s_add_u32 s6, s6, 48
	s_addc_u32 s7, s7, 0
	s_waitcnt lgkmcnt(0)
	v_mul_hi_u32 v2, s17, v1
	s_add_i32 s38, s38, 4
	s_add_u32 s2, s2, 32
	s_addc_u32 s3, s3, 0
	v_add_u32_e32 v2, v1, v2
	v_lshrrev_b32_e32 v2, s18, v2
	s_waitcnt vmcnt(0)
	v_mul_lo_u32 v3, v2, s16
	v_mul_hi_u32 v5, s20, v2
	s_cmp_lg_u32 s36, s38
	v_sub_u32_e32 v1, v1, v3
	v_add_u32_e32 v3, v2, v5
	v_mul_lo_u32 v5, v1, s8
	v_mul_lo_u32 v7, v1, s9
	v_lshrrev_b32_e32 v1, s21, v3
	v_mul_lo_u32 v3, v1, s19
	v_mul_hi_u32 v9, s23, v1
	v_sub_u32_e32 v2, v2, v3
	v_add_u32_e32 v3, v1, v9
	v_lshrrev_b32_e32 v3, s24, v3
	v_mul_hi_u32 v10, s26, v3
	v_mul_lo_u32 v12, v3, s22
	v_mul_lo_u32 v9, v2, s10
	v_mul_lo_u32 v2, v2, s11
	v_sub_u32_e32 v12, v1, v12
	v_add_u32_e32 v1, v3, v10
	v_lshrrev_b32_e32 v1, s27, v1
	v_mul_lo_u32 v10, v1, s25
	v_mul_lo_u32 v14, v12, s12
	;; [unrolled: 1-line block ×3, first 2 shown]
	v_add3_u32 v4, v5, v4, v9
	v_sub_u32_e32 v3, v3, v10
	v_mul_lo_u32 v10, v3, s14
	v_mul_lo_u32 v3, v3, s15
	v_add3_u32 v2, v7, v11, v2
	v_add3_u32 v4, v14, v4, v10
	;; [unrolled: 1-line block ×3, first 2 shown]
	s_cbranch_scc1 .LBB18_1121
; %bb.1122:
	s_and_b32 s8, s37, 3
	s_cmp_eq_u32 s8, 0
	s_cbranch_scc0 .LBB18_1126
	s_branch .LBB18_1128
.LBB18_1123:
                                        ; implicit-def: $vgpr4
                                        ; implicit-def: $vgpr11
	s_branch .LBB18_1129
.LBB18_1124:
	v_mov_b32_e32 v4, 0
	v_mov_b32_e32 v11, 0
	s_branch .LBB18_1128
.LBB18_1125:
	v_mov_b32_e32 v4, 0
	v_mov_b32_e32 v11, 0
	;; [unrolled: 1-line block ×3, first 2 shown]
	s_and_b32 s8, s37, 3
	s_cmp_eq_u32 s8, 0
	s_cbranch_scc1 .LBB18_1128
.LBB18_1126:
	s_lshl_b32 s2, s36, 3
	s_add_u32 s2, s34, s2
	s_addc_u32 s3, s35, 0
	s_add_u32 s2, s2, 0xc4
	s_addc_u32 s3, s3, 0
	s_mul_i32 s6, s36, 12
	s_add_u32 s6, s34, s6
	s_addc_u32 s7, s35, 0
.LBB18_1127:                            ; =>This Inner Loop Header: Depth=1
	s_load_dwordx2 s[10:11], s[6:7], 0x4
	s_load_dword s9, s[6:7], 0xc
	s_load_dwordx2 s[12:13], s[2:3], 0x0
	s_add_u32 s6, s6, 12
	s_addc_u32 s7, s7, 0
	s_waitcnt lgkmcnt(0)
	v_mul_hi_u32 v2, s11, v1
	s_add_u32 s2, s2, 8
	s_addc_u32 s3, s3, 0
	s_add_i32 s8, s8, -1
	v_add_u32_e32 v2, v1, v2
	v_lshrrev_b32_e32 v2, s9, v2
	s_waitcnt vmcnt(0)
	v_mul_lo_u32 v3, v2, s10
	s_cmp_lg_u32 s8, 0
	v_sub_u32_e32 v1, v1, v3
	v_mad_u64_u32 v[4:5], s[10:11], v1, s12, v[4:5]
	v_mad_u64_u32 v[11:12], s[10:11], v1, s13, v[11:12]
	v_mov_b32_e32 v1, v2
	s_cbranch_scc1 .LBB18_1127
.LBB18_1128:
	s_cbranch_execnz .LBB18_1131
.LBB18_1129:
	s_load_dwordx4 s[8:11], s[34:35], 0x4
	s_load_dwordx2 s[2:3], s[34:35], 0xc4
	s_cmp_lt_u32 s33, 2
	s_waitcnt lgkmcnt(0)
	v_mul_hi_u32 v1, s9, v0
	v_add_u32_e32 v1, v0, v1
	v_lshrrev_b32_e32 v1, s10, v1
	v_mul_lo_u32 v2, v1, s8
	v_sub_u32_e32 v0, v0, v2
	v_mul_lo_u32 v4, v0, s2
	v_mul_lo_u32 v11, v0, s3
	s_cbranch_scc1 .LBB18_1131
; %bb.1130:
	s_load_dwordx4 s[8:11], s[34:35], 0x10
	s_load_dwordx2 s[2:3], s[34:35], 0xcc
	s_waitcnt lgkmcnt(0)
	v_mul_hi_u32 v0, s9, v1
	v_add_u32_e32 v0, v1, v0
	v_lshrrev_b32_e32 v0, s10, v0
	v_mul_lo_u32 v0, v0, s8
	v_sub_u32_e32 v0, v1, v0
	s_waitcnt vmcnt(0)
	v_mad_u64_u32 v[4:5], s[6:7], v0, s2, v[4:5]
	v_mad_u64_u32 v[11:12], s[2:3], v0, s3, v[11:12]
.LBB18_1131:
	s_and_b64 vcc, exec, s[0:1]
	v_add_u32_e32 v0, 0x100, v8
	s_cbranch_vccnz .LBB18_1137
; %bb.1132:
	s_cmp_lg_u32 s33, 0
	s_mov_b32 s36, 0
	s_cbranch_scc0 .LBB18_1138
; %bb.1133:
	s_min_u32 s37, s72, 15
	s_add_i32 s37, s37, 1
	s_cmp_eq_u32 s72, 2
	s_cbranch_scc1 .LBB18_1139
; %bb.1134:
	s_and_b32 s36, s37, 28
	s_add_u32 s2, s34, 0xc4
	s_addc_u32 s3, s35, 0
	v_mov_b32_e32 v9, 0
	s_mov_b32 s38, 0
	s_mov_b64 s[6:7], s[34:35]
	v_mov_b32_e32 v2, 0
	v_mov_b32_e32 v1, v0
.LBB18_1135:                            ; =>This Inner Loop Header: Depth=1
	s_load_dwordx8 s[16:23], s[6:7], 0x4
	s_load_dwordx4 s[24:27], s[6:7], 0x24
	s_load_dwordx8 s[8:15], s[2:3], 0x0
	s_add_u32 s6, s6, 48
	s_addc_u32 s7, s7, 0
	s_waitcnt vmcnt(0) lgkmcnt(0)
	v_mul_hi_u32 v3, s17, v1
	s_add_i32 s38, s38, 4
	s_add_u32 s2, s2, 32
	s_addc_u32 s3, s3, 0
	v_add_u32_e32 v3, v1, v3
	v_lshrrev_b32_e32 v3, s18, v3
	v_mul_lo_u32 v5, v3, s16
	v_mul_hi_u32 v7, s20, v3
	s_cmp_lg_u32 s36, s38
	v_sub_u32_e32 v1, v1, v5
	v_add_u32_e32 v5, v3, v7
	v_mul_lo_u32 v7, v1, s8
	v_mul_lo_u32 v8, v1, s9
	v_lshrrev_b32_e32 v1, s21, v5
	v_mul_lo_u32 v5, v1, s19
	v_mul_hi_u32 v10, s23, v1
	v_sub_u32_e32 v3, v3, v5
	v_add_u32_e32 v5, v1, v10
	v_lshrrev_b32_e32 v5, s24, v5
	v_mul_hi_u32 v12, s26, v5
	v_mul_lo_u32 v14, v5, s22
	v_mul_lo_u32 v10, v3, s10
	;; [unrolled: 1-line block ×3, first 2 shown]
	v_sub_u32_e32 v14, v1, v14
	v_add_u32_e32 v1, v5, v12
	v_lshrrev_b32_e32 v1, s27, v1
	v_mul_lo_u32 v12, v1, s25
	v_mul_lo_u32 v16, v14, s12
	;; [unrolled: 1-line block ×3, first 2 shown]
	v_add3_u32 v2, v7, v2, v10
	v_sub_u32_e32 v5, v5, v12
	v_mul_lo_u32 v12, v5, s14
	v_mul_lo_u32 v5, v5, s15
	v_add3_u32 v3, v8, v9, v3
	v_add3_u32 v2, v16, v2, v12
	;; [unrolled: 1-line block ×3, first 2 shown]
	s_cbranch_scc1 .LBB18_1135
; %bb.1136:
	s_and_b32 s8, s37, 3
	s_cmp_eq_u32 s8, 0
	s_cbranch_scc0 .LBB18_1140
	s_branch .LBB18_1142
.LBB18_1137:
                                        ; implicit-def: $vgpr2
                                        ; implicit-def: $vgpr9
	s_branch .LBB18_1143
.LBB18_1138:
	v_mov_b32_e32 v2, 0
	v_mov_b32_e32 v9, 0
	s_branch .LBB18_1142
.LBB18_1139:
	v_mov_b32_e32 v2, 0
	v_mov_b32_e32 v9, 0
	;; [unrolled: 1-line block ×3, first 2 shown]
	s_and_b32 s8, s37, 3
	s_cmp_eq_u32 s8, 0
	s_cbranch_scc1 .LBB18_1142
.LBB18_1140:
	s_lshl_b32 s2, s36, 3
	s_add_u32 s2, s34, s2
	s_addc_u32 s3, s35, 0
	s_add_u32 s2, s2, 0xc4
	s_addc_u32 s3, s3, 0
	s_mul_i32 s6, s36, 12
	s_add_u32 s6, s34, s6
	s_addc_u32 s7, s35, 0
.LBB18_1141:                            ; =>This Inner Loop Header: Depth=1
	s_load_dwordx2 s[10:11], s[6:7], 0x4
	s_load_dword s9, s[6:7], 0xc
	s_load_dwordx2 s[12:13], s[2:3], 0x0
	s_add_u32 s6, s6, 12
	s_addc_u32 s7, s7, 0
	s_waitcnt vmcnt(0) lgkmcnt(0)
	v_mul_hi_u32 v3, s11, v1
	s_add_u32 s2, s2, 8
	s_addc_u32 s3, s3, 0
	s_add_i32 s8, s8, -1
	v_add_u32_e32 v3, v1, v3
	v_lshrrev_b32_e32 v5, s9, v3
	v_mul_lo_u32 v3, v5, s10
	s_cmp_lg_u32 s8, 0
	v_sub_u32_e32 v1, v1, v3
	v_mad_u64_u32 v[2:3], s[10:11], v1, s12, v[2:3]
	v_mad_u64_u32 v[9:10], s[10:11], v1, s13, v[9:10]
	v_mov_b32_e32 v1, v5
	s_cbranch_scc1 .LBB18_1141
.LBB18_1142:
	s_cbranch_execnz .LBB18_1145
.LBB18_1143:
	s_load_dwordx4 s[8:11], s[34:35], 0x4
	s_load_dwordx2 s[2:3], s[34:35], 0xc4
	s_cmp_lt_u32 s33, 2
	s_waitcnt lgkmcnt(0)
	v_mul_hi_u32 v1, s9, v0
	v_add_u32_e32 v1, v0, v1
	v_lshrrev_b32_e32 v1, s10, v1
	v_mul_lo_u32 v2, v1, s8
	v_sub_u32_e32 v0, v0, v2
	v_mul_lo_u32 v2, v0, s2
	v_mul_lo_u32 v9, v0, s3
	s_cbranch_scc1 .LBB18_1145
; %bb.1144:
	s_load_dwordx4 s[8:11], s[34:35], 0x10
	s_load_dwordx2 s[2:3], s[34:35], 0xcc
	s_waitcnt lgkmcnt(0)
	v_mul_hi_u32 v0, s9, v1
	v_add_u32_e32 v0, v1, v0
	v_lshrrev_b32_e32 v0, s10, v0
	v_mul_lo_u32 v0, v0, s8
	v_sub_u32_e32 v0, v1, v0
	s_waitcnt vmcnt(0)
	v_mad_u64_u32 v[2:3], s[6:7], v0, s2, v[2:3]
	v_mad_u64_u32 v[9:10], s[2:3], v0, s3, v[9:10]
.LBB18_1145:
	s_and_b64 vcc, exec, s[0:1]
	s_cbranch_vccnz .LBB18_1151
; %bb.1146:
	s_cmp_lg_u32 s33, 0
	s_mov_b32 s26, 0
	s_cbranch_scc0 .LBB18_1152
; %bb.1147:
	s_min_u32 s27, s72, 15
	s_add_i32 s27, s27, 1
	s_cmp_eq_u32 s72, 2
	s_cbranch_scc1 .LBB18_1153
; %bb.1148:
	s_and_b32 s26, s27, 28
	s_add_u32 s6, s34, 0xc4
	s_addc_u32 s7, s35, 0
	v_mov_b32_e32 v7, 0
	s_mov_b32 s36, 0
	s_mov_b64 s[24:25], s[34:35]
	v_mov_b32_e32 v0, 0
	v_mov_b32_e32 v1, v15
.LBB18_1149:                            ; =>This Inner Loop Header: Depth=1
	s_load_dwordx8 s[16:23], s[24:25], 0x4
	s_load_dwordx4 s[0:3], s[24:25], 0x24
	s_load_dwordx8 s[8:15], s[6:7], 0x0
	s_add_u32 s24, s24, 48
	s_addc_u32 s25, s25, 0
	s_waitcnt vmcnt(0) lgkmcnt(0)
	v_mul_hi_u32 v3, s17, v1
	s_add_i32 s36, s36, 4
	s_add_u32 s6, s6, 32
	s_addc_u32 s7, s7, 0
	v_add_u32_e32 v3, v1, v3
	v_lshrrev_b32_e32 v3, s18, v3
	v_mul_lo_u32 v5, v3, s16
	v_mul_hi_u32 v8, s20, v3
	s_cmp_lg_u32 s26, s36
	v_sub_u32_e32 v1, v1, v5
	v_add_u32_e32 v5, v3, v8
	v_mul_lo_u32 v8, v1, s8
	v_mul_lo_u32 v10, v1, s9
	v_lshrrev_b32_e32 v1, s21, v5
	v_mul_lo_u32 v5, v1, s19
	v_mul_hi_u32 v12, s23, v1
	v_sub_u32_e32 v3, v3, v5
	v_add_u32_e32 v5, v1, v12
	v_lshrrev_b32_e32 v5, s0, v5
	v_mul_hi_u32 v14, s2, v5
	v_mul_lo_u32 v16, v5, s22
	v_mul_lo_u32 v12, v3, s10
	;; [unrolled: 1-line block ×3, first 2 shown]
	v_sub_u32_e32 v16, v1, v16
	v_add_u32_e32 v1, v5, v14
	v_lshrrev_b32_e32 v1, s3, v1
	v_mul_lo_u32 v14, v1, s1
	v_mul_lo_u32 v17, v16, s12
	;; [unrolled: 1-line block ×3, first 2 shown]
	v_add3_u32 v0, v8, v0, v12
	v_sub_u32_e32 v5, v5, v14
	v_mul_lo_u32 v14, v5, s14
	v_mul_lo_u32 v5, v5, s15
	v_add3_u32 v3, v10, v7, v3
	v_add3_u32 v0, v17, v0, v14
	;; [unrolled: 1-line block ×3, first 2 shown]
	s_cbranch_scc1 .LBB18_1149
; %bb.1150:
	s_and_b32 s6, s27, 3
	s_cmp_eq_u32 s6, 0
	s_cbranch_scc0 .LBB18_1154
	s_branch .LBB18_1156
.LBB18_1151:
                                        ; implicit-def: $vgpr0
                                        ; implicit-def: $vgpr7
	s_branch .LBB18_1157
.LBB18_1152:
	v_mov_b32_e32 v0, 0
	v_mov_b32_e32 v7, 0
	s_branch .LBB18_1156
.LBB18_1153:
	v_mov_b32_e32 v0, 0
	v_mov_b32_e32 v7, 0
	;; [unrolled: 1-line block ×3, first 2 shown]
	s_and_b32 s6, s27, 3
	s_cmp_eq_u32 s6, 0
	s_cbranch_scc1 .LBB18_1156
.LBB18_1154:
	s_lshl_b32 s0, s26, 3
	s_add_u32 s0, s34, s0
	s_addc_u32 s1, s35, 0
	s_add_u32 s0, s0, 0xc4
	s_addc_u32 s1, s1, 0
	s_mul_i32 s2, s26, 12
	s_add_u32 s2, s34, s2
	s_addc_u32 s3, s35, 0
.LBB18_1155:                            ; =>This Inner Loop Header: Depth=1
	s_load_dwordx2 s[8:9], s[2:3], 0x4
	s_load_dword s7, s[2:3], 0xc
	s_load_dwordx2 s[10:11], s[0:1], 0x0
	s_add_u32 s2, s2, 12
	s_addc_u32 s3, s3, 0
	s_waitcnt vmcnt(0) lgkmcnt(0)
	v_mul_hi_u32 v3, s9, v1
	s_add_u32 s0, s0, 8
	s_addc_u32 s1, s1, 0
	s_add_i32 s6, s6, -1
	v_add_u32_e32 v3, v1, v3
	v_lshrrev_b32_e32 v3, s7, v3
	v_mul_lo_u32 v5, v3, s8
	s_cmp_lg_u32 s6, 0
	v_sub_u32_e32 v5, v1, v5
	v_mad_u64_u32 v[0:1], s[8:9], v5, s10, v[0:1]
	v_mad_u64_u32 v[7:8], s[8:9], v5, s11, v[7:8]
	v_mov_b32_e32 v1, v3
	s_cbranch_scc1 .LBB18_1155
.LBB18_1156:
	s_cbranch_execnz .LBB18_1159
.LBB18_1157:
	s_load_dwordx4 s[0:3], s[34:35], 0x4
	s_load_dwordx2 s[6:7], s[34:35], 0xc4
	s_cmp_lt_u32 s33, 2
	s_waitcnt lgkmcnt(0)
	v_mul_hi_u32 v0, s1, v15
	v_add_u32_e32 v0, v15, v0
	v_lshrrev_b32_e32 v1, s2, v0
	v_mul_lo_u32 v0, v1, s0
	s_waitcnt vmcnt(0)
	v_sub_u32_e32 v3, v15, v0
	v_mul_lo_u32 v0, v3, s6
	v_mul_lo_u32 v7, v3, s7
	s_cbranch_scc1 .LBB18_1159
; %bb.1158:
	s_load_dwordx4 s[0:3], s[34:35], 0x10
	s_load_dwordx2 s[6:7], s[34:35], 0xcc
	s_waitcnt lgkmcnt(0)
	v_mul_hi_u32 v3, s1, v1
	v_add_u32_e32 v3, v1, v3
	v_lshrrev_b32_e32 v3, s2, v3
	v_mul_lo_u32 v3, v3, s0
	v_sub_u32_e32 v3, v1, v3
	v_mad_u64_u32 v[0:1], s[0:1], v3, s6, v[0:1]
	v_mad_u64_u32 v[7:8], s[0:1], v3, s7, v[7:8]
.LBB18_1159:
	s_load_dwordx4 s[8:11], s[34:35], 0x148
	s_load_dword s16, s[4:5], 0x160
	s_waitcnt lgkmcnt(0)
	v_mov_b32_e32 v1, s11
	s_bfe_u32 s14, s16, 0x80010
	v_add_co_u32_e32 v12, vcc, s10, v13
	s_cmp_lt_i32 s14, 11
	v_addc_co_u32_e32 v13, vcc, 0, v1, vcc
	s_cbranch_scc1 .LBB18_1166
; %bb.1160:
	s_and_b32 s15, 0xffff, s14
	s_cmp_gt_i32 s15, 25
	s_mov_b64 s[4:5], 0
	s_cbranch_scc0 .LBB18_1168
; %bb.1161:
	s_cmp_gt_i32 s15, 28
	s_cbranch_scc0 .LBB18_1169
; %bb.1162:
	s_cmp_gt_i32 s15, 43
	;; [unrolled: 3-line block ×3, first 2 shown]
	s_cbranch_scc0 .LBB18_1171
; %bb.1164:
	s_cmp_eq_u32 s15, 46
	s_mov_b64 s[2:3], 0
	s_cbranch_scc0 .LBB18_1174
; %bb.1165:
	global_load_dword v1, v[12:13], off
	s_mov_b64 s[0:1], 0
	s_mov_b64 s[6:7], -1
	s_waitcnt vmcnt(0)
	v_lshlrev_b32_e32 v1, 16, v1
	s_branch .LBB18_1175
.LBB18_1166:
	s_mov_b64 s[6:7], 0
                                        ; implicit-def: $vgpr1
	s_mov_b64 s[2:3], s[28:29]
	s_cbranch_execnz .LBB18_1238
.LBB18_1167:
	s_andn2_b64 vcc, exec, s[6:7]
	s_cbranch_vccz .LBB18_1283
	s_branch .LBB18_1765
.LBB18_1168:
	s_mov_b64 s[6:7], 0
	s_mov_b64 s[0:1], 0
                                        ; implicit-def: $vgpr1
	s_cbranch_execnz .LBB18_1203
	s_branch .LBB18_1234
.LBB18_1169:
	s_mov_b64 s[2:3], -1
	s_mov_b64 s[6:7], 0
	s_mov_b64 s[0:1], 0
                                        ; implicit-def: $vgpr1
	s_branch .LBB18_1184
.LBB18_1170:
	s_mov_b64 s[6:7], 0
	s_mov_b64 s[0:1], 0
                                        ; implicit-def: $vgpr1
	s_cbranch_execnz .LBB18_1180
	s_branch .LBB18_1183
.LBB18_1171:
	s_mov_b64 s[2:3], -1
	s_mov_b64 s[6:7], 0
	s_mov_b64 s[0:1], 0
                                        ; implicit-def: $vgpr1
	s_branch .LBB18_1175
.LBB18_1172:
	s_andn2_saveexec_b64 s[14:15], s[14:15]
	s_cbranch_execz .LBB18_1015
.LBB18_1173:
	s_mov_b32 s16, 0x46000000
	v_add_f32_e64 v0, |v1|, s16
	v_and_b32_e32 v0, 0xff, v0
	v_cmp_ne_u32_e32 vcc, 0, v0
	s_andn2_b64 s[12:13], s[12:13], exec
	s_and_b64 s[16:17], vcc, exec
	s_or_b64 s[12:13], s[12:13], s[16:17]
	s_or_b64 exec, exec, s[14:15]
	v_mov_b32_e32 v2, 0
	s_and_saveexec_b64 s[14:15], s[12:13]
	s_cbranch_execnz .LBB18_1016
	s_branch .LBB18_1017
.LBB18_1174:
	s_mov_b64 s[0:1], -1
                                        ; implicit-def: $vgpr1
	s_mov_b64 s[6:7], 0
.LBB18_1175:
	s_and_b64 vcc, exec, s[2:3]
	s_cbranch_vccz .LBB18_1178
; %bb.1176:
	s_cmp_eq_u32 s15, 44
	s_cbranch_scc0 .LBB18_1179
; %bb.1177:
	global_load_ubyte v1, v[12:13], off
	s_movk_i32 s2, 0xff
	s_waitcnt vmcnt(1)
	v_mov_b32_e32 v3, 0x7f800001
	v_mov_b32_e32 v5, 0x400000
	s_mov_b64 s[0:1], 0
	s_mov_b64 s[6:7], -1
	s_waitcnt vmcnt(0)
	v_lshlrev_b32_e32 v8, 23, v1
	v_cmp_ne_u32_e32 vcc, s2, v1
	v_cndmask_b32_e32 v3, v3, v8, vcc
	v_cmp_ne_u32_e32 vcc, 0, v1
	v_cndmask_b32_e32 v1, v5, v3, vcc
.LBB18_1178:
	s_branch .LBB18_1183
.LBB18_1179:
	s_mov_b64 s[0:1], -1
                                        ; implicit-def: $vgpr1
	s_branch .LBB18_1183
.LBB18_1180:
	s_cmp_eq_u32 s15, 29
	s_cbranch_scc0 .LBB18_1182
; %bb.1181:
	global_load_dwordx2 v[14:15], v[12:13], off
	s_mov_b64 s[0:1], 0
	s_mov_b64 s[6:7], -1
	s_mov_b64 s[2:3], 0
	s_waitcnt vmcnt(0)
	v_ffbh_u32_e32 v1, v15
	v_min_u32_e32 v1, 32, v1
	v_lshlrev_b64 v[14:15], v1, v[14:15]
	v_sub_u32_e32 v1, 32, v1
	v_min_u32_e32 v3, 1, v14
	v_or_b32_e32 v3, v15, v3
	v_cvt_f32_u32_e32 v3, v3
	v_ldexp_f32 v1, v3, v1
	s_branch .LBB18_1184
.LBB18_1182:
	s_mov_b64 s[0:1], -1
                                        ; implicit-def: $vgpr1
.LBB18_1183:
	s_mov_b64 s[2:3], 0
.LBB18_1184:
	s_and_b64 vcc, exec, s[2:3]
	s_cbranch_vccz .LBB18_1202
; %bb.1185:
	s_cmp_lt_i32 s15, 27
	s_cbranch_scc1 .LBB18_1188
; %bb.1186:
	s_cmp_gt_i32 s15, 27
	s_cbranch_scc0 .LBB18_1189
; %bb.1187:
	global_load_dword v1, v[12:13], off
	s_mov_b64 s[2:3], 0
	s_waitcnt vmcnt(0)
	v_cvt_f32_u32_e32 v1, v1
	s_branch .LBB18_1190
.LBB18_1188:
	s_mov_b64 s[2:3], -1
                                        ; implicit-def: $vgpr1
	s_branch .LBB18_1193
.LBB18_1189:
	s_mov_b64 s[2:3], -1
                                        ; implicit-def: $vgpr1
.LBB18_1190:
	s_andn2_b64 vcc, exec, s[2:3]
	s_cbranch_vccnz .LBB18_1192
; %bb.1191:
	global_load_ushort v1, v[12:13], off
	s_waitcnt vmcnt(0)
	v_cvt_f32_u32_e32 v1, v1
.LBB18_1192:
	s_mov_b64 s[2:3], 0
.LBB18_1193:
	s_andn2_b64 vcc, exec, s[2:3]
	s_cbranch_vccnz .LBB18_1201
; %bb.1194:
	global_load_ubyte v3, v[12:13], off
	s_movk_i32 s2, 0x7f
	s_waitcnt vmcnt(0)
	v_cmp_lt_i16_e32 vcc, s2, v3
	s_mov_b64 s[2:3], 0
	s_and_saveexec_b64 s[6:7], vcc
	s_xor_b64 s[6:7], exec, s[6:7]
	s_cbranch_execz .LBB18_1214
; %bb.1195:
	s_movk_i32 s2, 0x80
	v_cmp_eq_u16_e32 vcc, s2, v3
	s_mov_b64 s[2:3], -1
	s_and_saveexec_b64 s[12:13], vcc
; %bb.1196:
	s_xor_b64 s[2:3], exec, -1
; %bb.1197:
	s_or_b64 exec, exec, s[12:13]
	s_and_b64 s[2:3], s[2:3], exec
	s_or_saveexec_b64 s[6:7], s[6:7]
	v_mov_b32_e32 v1, 0x7f800001
	s_xor_b64 exec, exec, s[6:7]
	s_cbranch_execnz .LBB18_1215
.LBB18_1198:
	s_or_b64 exec, exec, s[6:7]
	s_and_saveexec_b64 s[6:7], s[2:3]
	s_cbranch_execz .LBB18_1200
.LBB18_1199:
	v_lshlrev_b32_e32 v1, 24, v3
	v_and_b32_e32 v3, 0xffff, v3
	v_and_b32_e32 v5, 7, v3
	v_ffbh_u32_e32 v10, v5
	v_min_u32_e32 v10, 32, v10
	v_subrev_u32_e32 v14, 28, v10
	v_bfe_u32 v8, v3, 3, 4
	v_lshlrev_b32_e32 v3, v14, v3
	v_sub_u32_e32 v10, 29, v10
	v_and_b32_e32 v3, 7, v3
	v_cmp_eq_u32_e32 vcc, 0, v8
	v_cndmask_b32_e32 v8, v8, v10, vcc
	v_cndmask_b32_e32 v3, v5, v3, vcc
	v_mov_b32_e32 v5, 0x3b800000
	v_lshlrev_b32_e32 v3, 20, v3
	v_and_b32_e32 v1, 0x80000000, v1
	v_lshl_add_u32 v5, v8, 23, v5
	v_or3_b32 v1, v1, v5, v3
.LBB18_1200:
	s_or_b64 exec, exec, s[6:7]
.LBB18_1201:
	s_mov_b64 s[6:7], -1
.LBB18_1202:
	s_branch .LBB18_1234
.LBB18_1203:
	s_cmp_gt_i32 s15, 22
	s_cbranch_scc0 .LBB18_1213
; %bb.1204:
	s_cmp_lt_i32 s15, 24
	s_cbranch_scc1 .LBB18_1216
; %bb.1205:
	s_cmp_gt_i32 s15, 24
	s_cbranch_scc0 .LBB18_1217
; %bb.1206:
	global_load_ubyte v3, v[12:13], off
	s_movk_i32 s2, 0x7f
	s_waitcnt vmcnt(0)
	v_cmp_lt_i16_e32 vcc, s2, v3
	s_mov_b64 s[2:3], 0
	s_and_saveexec_b64 s[4:5], vcc
	s_xor_b64 s[4:5], exec, s[4:5]
	s_cbranch_execz .LBB18_1228
; %bb.1207:
	s_movk_i32 s2, 0x80
	v_cmp_eq_u16_e32 vcc, s2, v3
	s_mov_b64 s[2:3], -1
	s_and_saveexec_b64 s[6:7], vcc
; %bb.1208:
	s_xor_b64 s[2:3], exec, -1
; %bb.1209:
	s_or_b64 exec, exec, s[6:7]
	s_and_b64 s[2:3], s[2:3], exec
	s_or_saveexec_b64 s[4:5], s[4:5]
	v_mov_b32_e32 v1, 0x7f800001
	s_xor_b64 exec, exec, s[4:5]
	s_cbranch_execnz .LBB18_1229
.LBB18_1210:
	s_or_b64 exec, exec, s[4:5]
	s_and_saveexec_b64 s[4:5], s[2:3]
	s_cbranch_execz .LBB18_1212
.LBB18_1211:
	v_lshlrev_b32_e32 v1, 24, v3
	v_and_b32_e32 v3, 0xffff, v3
	v_and_b32_e32 v5, 3, v3
	v_ffbh_u32_e32 v10, v5
	v_min_u32_e32 v10, 32, v10
	v_subrev_u32_e32 v14, 29, v10
	v_bfe_u32 v8, v3, 2, 5
	v_lshlrev_b32_e32 v3, v14, v3
	v_sub_u32_e32 v10, 30, v10
	v_and_b32_e32 v3, 3, v3
	v_cmp_eq_u32_e32 vcc, 0, v8
	v_cndmask_b32_e32 v8, v8, v10, vcc
	v_cndmask_b32_e32 v3, v5, v3, vcc
	v_mov_b32_e32 v5, 0x37800000
	v_lshlrev_b32_e32 v3, 21, v3
	v_and_b32_e32 v1, 0x80000000, v1
	v_lshl_add_u32 v5, v8, 23, v5
	v_or3_b32 v1, v1, v5, v3
.LBB18_1212:
	s_or_b64 exec, exec, s[4:5]
	s_mov_b64 s[2:3], 0
	s_branch .LBB18_1218
.LBB18_1213:
                                        ; implicit-def: $vgpr1
	s_mov_b64 s[4:5], 0
	s_branch .LBB18_1224
.LBB18_1214:
	s_or_saveexec_b64 s[6:7], s[6:7]
	v_mov_b32_e32 v1, 0x7f800001
	s_xor_b64 exec, exec, s[6:7]
	s_cbranch_execz .LBB18_1198
.LBB18_1215:
	v_cmp_ne_u16_e32 vcc, 0, v3
	s_andn2_b64 s[2:3], s[2:3], exec
	s_and_b64 s[12:13], vcc, exec
	v_mov_b32_e32 v1, 0
	s_or_b64 s[2:3], s[2:3], s[12:13]
	s_or_b64 exec, exec, s[6:7]
	s_and_saveexec_b64 s[6:7], s[2:3]
	s_cbranch_execnz .LBB18_1199
	s_branch .LBB18_1200
.LBB18_1216:
	s_mov_b64 s[2:3], -1
                                        ; implicit-def: $vgpr1
	s_branch .LBB18_1221
.LBB18_1217:
	s_mov_b64 s[2:3], -1
                                        ; implicit-def: $vgpr1
.LBB18_1218:
	s_and_b64 vcc, exec, s[2:3]
	s_cbranch_vccz .LBB18_1220
; %bb.1219:
	global_load_ubyte v1, v[12:13], off
	s_mov_b32 s2, 0x7f800000
	s_waitcnt vmcnt(0)
	v_lshlrev_b32_e32 v1, 24, v1
	v_and_b32_e32 v3, 0x7f000000, v1
	v_ffbh_u32_e32 v5, v3
	v_min_u32_e32 v5, 32, v5
	v_sub_u32_e64 v5, v5, 4 clamp
	v_lshlrev_b32_e32 v10, v5, v3
	v_lshlrev_b32_e32 v5, 23, v5
	v_lshrrev_b32_e32 v10, 4, v10
	v_add_u32_e32 v8, 0x1000000, v3
	v_sub_u32_e32 v5, v10, v5
	v_ashrrev_i32_e32 v8, 8, v8
	v_add_u32_e32 v5, 0x3c000000, v5
	v_and_or_b32 v5, v8, s2, v5
	v_cmp_ne_u32_e32 vcc, 0, v3
	v_cndmask_b32_e32 v3, 0, v5, vcc
	s_brev_b32 s2, 1
	v_and_or_b32 v1, v1, s2, v3
.LBB18_1220:
	s_mov_b64 s[2:3], 0
.LBB18_1221:
	s_andn2_b64 vcc, exec, s[2:3]
	s_cbranch_vccnz .LBB18_1223
; %bb.1222:
	global_load_ubyte v1, v[12:13], off
	s_movk_i32 s2, 0x7f00
	s_brev_b32 s3, 16
	s_waitcnt vmcnt(0)
	v_lshlrev_b16_e32 v3, 8, v1
	v_lshlrev_b32_e32 v1, 25, v1
	v_lshrrev_b32_e32 v5, 4, v1
	v_and_or_b32 v8, v3, s2, 0.5
	v_or_b32_e32 v5, 0x70000000, v5
	v_add_f32_e32 v8, -0.5, v8
	v_mul_f32_e32 v5, 0x7800000, v5
	v_cmp_gt_u32_e32 vcc, s3, v1
	v_bfe_i32 v3, v3, 0, 16
	v_cndmask_b32_e32 v1, v5, v8, vcc
	s_brev_b32 s2, 1
	v_and_or_b32 v1, v3, s2, v1
.LBB18_1223:
	s_mov_b64 s[6:7], -1
	s_mov_b64 s[4:5], 0
	s_cbranch_execnz .LBB18_1234
.LBB18_1224:
	s_cmp_gt_i32 s15, 14
	s_cbranch_scc0 .LBB18_1227
; %bb.1225:
	s_cmp_eq_u32 s15, 15
	s_cbranch_scc0 .LBB18_1230
; %bb.1226:
	global_load_ushort v1, v[12:13], off
	s_mov_b64 s[0:1], 0
	s_mov_b64 s[6:7], -1
	s_waitcnt vmcnt(0)
	v_lshlrev_b32_e32 v1, 16, v1
	s_branch .LBB18_1231
.LBB18_1227:
	s_mov_b64 s[2:3], -1
                                        ; implicit-def: $vgpr1
	s_branch .LBB18_1232
.LBB18_1228:
	s_or_saveexec_b64 s[4:5], s[4:5]
	v_mov_b32_e32 v1, 0x7f800001
	s_xor_b64 exec, exec, s[4:5]
	s_cbranch_execz .LBB18_1210
.LBB18_1229:
	v_cmp_ne_u16_e32 vcc, 0, v3
	s_andn2_b64 s[2:3], s[2:3], exec
	s_and_b64 s[6:7], vcc, exec
	v_mov_b32_e32 v1, 0
	s_or_b64 s[2:3], s[2:3], s[6:7]
	s_or_b64 exec, exec, s[4:5]
	s_and_saveexec_b64 s[4:5], s[2:3]
	s_cbranch_execnz .LBB18_1211
	s_branch .LBB18_1212
.LBB18_1230:
	s_mov_b64 s[0:1], -1
                                        ; implicit-def: $vgpr1
.LBB18_1231:
	s_mov_b64 s[2:3], 0
.LBB18_1232:
	s_and_b64 vcc, exec, s[2:3]
	s_cbranch_vccz .LBB18_1234
; %bb.1233:
	s_cmp_lg_u32 s15, 11
	s_mov_b64 s[4:5], -1
	s_cselect_b64 s[0:1], -1, 0
.LBB18_1234:
	s_and_b64 vcc, exec, s[0:1]
	s_mov_b64 s[2:3], s[28:29]
	s_cbranch_vccnz .LBB18_1299
; %bb.1235:
	s_andn2_b64 vcc, exec, s[4:5]
	s_cbranch_vccnz .LBB18_1237
.LBB18_1236:
	global_load_ubyte v1, v[12:13], off
	s_mov_b64 s[6:7], -1
	s_waitcnt vmcnt(0)
	v_cmp_ne_u16_e32 vcc, 0, v1
	v_cndmask_b32_e64 v1, 0, 1.0, vcc
.LBB18_1237:
	s_branch .LBB18_1167
.LBB18_1238:
	s_and_b32 s4, 0xffff, s14
	s_cmp_lt_i32 s4, 5
	s_cbranch_scc1 .LBB18_1243
; %bb.1239:
	s_cmp_lt_i32 s4, 8
	s_cbranch_scc1 .LBB18_1244
; %bb.1240:
	;; [unrolled: 3-line block ×3, first 2 shown]
	s_cmp_gt_i32 s4, 9
	s_cbranch_scc0 .LBB18_1246
; %bb.1242:
	global_load_dwordx2 v[14:15], v[12:13], off
	s_mov_b64 s[0:1], 0
	s_waitcnt vmcnt(0)
	v_cvt_f32_f64_e32 v1, v[14:15]
	s_branch .LBB18_1247
.LBB18_1243:
                                        ; implicit-def: $vgpr1
	s_branch .LBB18_1264
.LBB18_1244:
                                        ; implicit-def: $vgpr1
	s_branch .LBB18_1253
.LBB18_1245:
	s_mov_b64 s[0:1], -1
                                        ; implicit-def: $vgpr1
	s_branch .LBB18_1250
.LBB18_1246:
	s_mov_b64 s[0:1], -1
                                        ; implicit-def: $vgpr1
.LBB18_1247:
	s_andn2_b64 vcc, exec, s[0:1]
	s_cbranch_vccnz .LBB18_1249
; %bb.1248:
	global_load_dword v1, v[12:13], off
.LBB18_1249:
	s_mov_b64 s[0:1], 0
.LBB18_1250:
	s_andn2_b64 vcc, exec, s[0:1]
	s_cbranch_vccnz .LBB18_1252
; %bb.1251:
	global_load_dword v1, v[12:13], off
	s_waitcnt vmcnt(0)
	v_cvt_f32_f16_e32 v1, v1
.LBB18_1252:
	s_cbranch_execnz .LBB18_1263
.LBB18_1253:
	s_cmp_lt_i32 s4, 6
	s_cbranch_scc1 .LBB18_1256
; %bb.1254:
	s_cmp_gt_i32 s4, 6
	s_cbranch_scc0 .LBB18_1257
; %bb.1255:
	global_load_dwordx2 v[14:15], v[12:13], off
	s_mov_b64 s[0:1], 0
	s_waitcnt vmcnt(0)
	v_cvt_f32_f64_e32 v1, v[14:15]
	s_branch .LBB18_1258
.LBB18_1256:
	s_mov_b64 s[0:1], -1
                                        ; implicit-def: $vgpr1
	s_branch .LBB18_1261
.LBB18_1257:
	s_mov_b64 s[0:1], -1
                                        ; implicit-def: $vgpr1
.LBB18_1258:
	s_andn2_b64 vcc, exec, s[0:1]
	s_cbranch_vccnz .LBB18_1260
; %bb.1259:
	global_load_dword v1, v[12:13], off
.LBB18_1260:
	s_mov_b64 s[0:1], 0
.LBB18_1261:
	s_andn2_b64 vcc, exec, s[0:1]
	s_cbranch_vccnz .LBB18_1263
; %bb.1262:
	global_load_ushort v1, v[12:13], off
	s_waitcnt vmcnt(0)
	v_cvt_f32_f16_e32 v1, v1
.LBB18_1263:
	s_cbranch_execnz .LBB18_1282
.LBB18_1264:
	s_cmp_lt_i32 s4, 2
	s_cbranch_scc1 .LBB18_1268
; %bb.1265:
	s_cmp_lt_i32 s4, 3
	s_cbranch_scc1 .LBB18_1269
; %bb.1266:
	s_cmp_gt_i32 s4, 3
	s_cbranch_scc0 .LBB18_1270
; %bb.1267:
	global_load_dwordx2 v[14:15], v[12:13], off
	s_mov_b64 s[0:1], 0
	s_waitcnt vmcnt(0)
	v_xor_b32_e32 v3, v14, v15
	v_ffbh_i32_e32 v1, v15
	v_ashrrev_i32_e32 v3, 31, v3
	v_add_u32_e32 v1, -1, v1
	v_add_u32_e32 v3, 32, v3
	v_min_u32_e32 v1, v1, v3
	v_lshlrev_b64 v[14:15], v1, v[14:15]
	v_sub_u32_e32 v1, 32, v1
	v_min_u32_e32 v3, 1, v14
	v_or_b32_e32 v3, v15, v3
	v_cvt_f32_i32_e32 v3, v3
	v_ldexp_f32 v1, v3, v1
	s_branch .LBB18_1271
.LBB18_1268:
                                        ; implicit-def: $vgpr1
	s_branch .LBB18_1277
.LBB18_1269:
	s_mov_b64 s[0:1], -1
                                        ; implicit-def: $vgpr1
	s_branch .LBB18_1274
.LBB18_1270:
	s_mov_b64 s[0:1], -1
                                        ; implicit-def: $vgpr1
.LBB18_1271:
	s_andn2_b64 vcc, exec, s[0:1]
	s_cbranch_vccnz .LBB18_1273
; %bb.1272:
	global_load_dword v1, v[12:13], off
	s_waitcnt vmcnt(0)
	v_cvt_f32_i32_e32 v1, v1
.LBB18_1273:
	s_mov_b64 s[0:1], 0
.LBB18_1274:
	s_andn2_b64 vcc, exec, s[0:1]
	s_cbranch_vccnz .LBB18_1276
; %bb.1275:
	global_load_sshort v1, v[12:13], off
	s_waitcnt vmcnt(0)
	v_cvt_f32_i32_e32 v1, v1
.LBB18_1276:
	s_cbranch_execnz .LBB18_1282
.LBB18_1277:
	s_cmp_gt_i32 s4, 0
	s_cbranch_scc0 .LBB18_1279
; %bb.1278:
	global_load_sbyte v1, v[12:13], off
	s_mov_b64 s[0:1], 0
	s_waitcnt vmcnt(0)
	v_cvt_f32_i32_e32 v1, v1
	s_branch .LBB18_1280
.LBB18_1279:
	s_mov_b64 s[0:1], -1
                                        ; implicit-def: $vgpr1
.LBB18_1280:
	s_andn2_b64 vcc, exec, s[0:1]
	s_cbranch_vccnz .LBB18_1282
; %bb.1281:
	global_load_ubyte v1, v[12:13], off
	s_waitcnt vmcnt(0)
	v_cvt_f32_ubyte0_e32 v1, v1
.LBB18_1282:
.LBB18_1283:
	s_mov_b32 s0, 0x41000000
	s_waitcnt vmcnt(0)
	v_cmp_le_f32_e64 s[0:1], |v1|, s0
                                        ; implicit-def: $vgpr5
	s_and_saveexec_b64 s[4:5], s[0:1]
	s_xor_b64 s[0:1], exec, s[4:5]
	s_cbranch_execz .LBB18_1285
; %bb.1284:
	v_fma_f32 v3, |v1|, 0.5, -2.0
	v_mov_b32_e32 v5, 0x24199b15
	v_fmac_f32_e32 v5, 0xa2a2e5b9, v3
	v_mov_b32_e32 v8, 0x22a2e5b9
	v_fmac_f32_e32 v8, v3, v5
	v_add_f32_e32 v8, 0xa58c275c, v8
	v_fma_f32 v5, v3, v8, -v5
	v_add_f32_e32 v5, 0x26f736c5, v5
	v_fma_f32 v8, v3, v5, -v8
	;; [unrolled: 2-line block ×22, first 2 shown]
	v_add_f32_e32 v8, 0xbcc274f8, v8
	s_mov_b32 s4, 0x3fb8aa3b
	v_fma_f32 v5, v3, v8, -v5
	v_mul_f32_e64 v10, |v1|, s4
	v_add_f32_e32 v5, 0x3d49f456, v5
	v_rndne_f32_e32 v12, v10
	v_fma_f32 v8, v3, v5, -v8
	v_sub_f32_e32 v13, v10, v12
	v_fma_f32 v10, |v1|, s4, -v10
	s_mov_b32 s4, 0x32a5705f
	v_add_f32_e32 v8, 0xbdc25b82, v8
	v_fma_f32 v10, |v1|, s4, v10
	v_fma_f32 v5, v3, v8, -v5
	v_add_f32_e32 v10, v13, v10
	v_add_f32_e32 v5, 0x3e2fbd64, v5
	v_exp_f32_e32 v10, v10
	v_cvt_i32_f32_e32 v12, v12
	v_fma_f32 v8, v3, v5, -v8
	v_add_f32_e32 v8, 0xbe9bff5e, v8
	v_fma_f32 v3, v3, v8, -v5
	s_mov_b32 s4, 0xc2ce8ed0
	v_add_f32_e32 v3, 0x3f2d4275, v3
	v_ldexp_f32 v8, v10, v12
	v_cmp_nlt_f32_e64 vcc, |v1|, s4
	s_mov_b32 s4, 0x42b17218
	v_cndmask_b32_e32 v8, 0, v8, vcc
	v_mov_b32_e32 v10, 0x7f800000
	v_cmp_ngt_f32_e64 vcc, |v1|, s4
	v_sub_f32_e32 v3, v3, v5
	v_cndmask_b32_e32 v1, v10, v8, vcc
	v_mul_f32_e32 v3, 0.5, v3
	v_mul_f32_e32 v5, v1, v3
                                        ; implicit-def: $vgpr1
.LBB18_1285:
	s_andn2_saveexec_b64 s[4:5], s[0:1]
	s_cbranch_execz .LBB18_1287
; %bb.1286:
	v_and_b32_e32 v3, 0x7fffffff, v1
	s_mov_b32 s6, 0x42000000
	v_div_scale_f32 v5, s[0:1], v3, v3, s6
	v_div_scale_f32 v3, vcc, s6, v3, s6
	s_mov_b32 s0, 0x3fb8aa3b
	v_mul_f32_e64 v12, |v1|, s0
	s_mov_b32 s1, 0x32a5705f
	v_rndne_f32_e32 v15, v12
	v_fma_f32 v16, |v1|, s0, -v12
	s_mov_b32 s13, 0xf800000
	s_mov_b32 s14, 0x4f800000
	v_sub_f32_e32 v12, v12, v15
	v_mul_f32_e64 v14, |v1|, s14
	s_mov_b32 s7, 0xc2ce8ed0
	s_mov_b32 s12, 0x42b17218
	v_mov_b32_e32 v8, 0xa2b236d3
	v_rcp_f32_e32 v13, v5
	v_mov_b32_e32 v10, 0x23056dbb
	v_fma_f32 v17, -v5, v13, 1.0
	v_fmac_f32_e32 v13, v17, v13
	v_mul_f32_e32 v17, v3, v13
	v_fma_f32 v18, -v5, v17, v3
	v_fmac_f32_e32 v17, v18, v13
	v_fma_f32 v3, -v5, v17, v3
	v_div_fmas_f32 v3, v3, v13, v17
	v_fma_f32 v13, |v1|, s1, v16
	v_cmp_lt_f32_e64 vcc, |v1|, s13
	v_add_f32_e32 v12, v12, v13
	v_cndmask_b32_e64 v5, |v1|, v14, vcc
	v_cvt_i32_f32_e32 v14, v15
	v_exp_f32_e32 v12, v12
	v_cmp_nlt_f32_e64 s[0:1], |v1|, s7
	v_sqrt_f32_e32 v15, v5
	v_mov_b32_e32 v13, 0x7f800000
	v_ldexp_f32 v12, v12, v14
	v_cndmask_b32_e64 v12, 0, v12, s[0:1]
	v_cmp_ngt_f32_e64 s[0:1], |v1|, s12
	v_add_u32_e32 v16, -1, v15
	v_fma_f32 v17, -v16, v15, v5
	v_cndmask_b32_e64 v12, v13, v12, s[0:1]
	v_div_fixup_f32 v1, v3, |v1|, s6
	v_add_f32_e32 v1, -2.0, v1
	v_fmac_f32_e32 v8, 0xa3056dbb, v1
	v_fmac_f32_e32 v10, v1, v8
	v_add_f32_e32 v3, 0x244df0c1, v10
	v_fma_f32 v8, v1, v3, -v8
	v_add_f32_e32 v8, 0x241f9ee8, v8
	v_fma_f32 v3, v1, v8, -v3
	;; [unrolled: 2-line block ×22, first 2 shown]
	v_add_u32_e32 v8, 1, v15
	v_add_f32_e32 v1, 0x3f4df315, v1
	v_cmp_ge_f32_e64 s[0:1], 0, v17
	v_fma_f32 v10, -v8, v15, v5
	v_sub_f32_e32 v1, v1, v3
	v_cndmask_b32_e64 v3, v15, v16, s[0:1]
	v_cmp_lt_f32_e64 s[0:1], 0, v10
	v_cndmask_b32_e64 v3, v3, v8, s[0:1]
	v_mul_f32_e32 v8, 0x37800000, v3
	v_cndmask_b32_e32 v3, v3, v8, vcc
	v_mov_b32_e32 v8, 0x260
	v_mul_f32_e32 v1, 0.5, v1
	v_cmp_class_f32_e32 vcc, v5, v8
	v_mul_f32_e32 v1, v12, v1
	v_cndmask_b32_e32 v3, v3, v5, vcc
	v_div_scale_f32 v5, s[0:1], v3, v3, v1
	v_div_scale_f32 v8, vcc, v1, v3, v1
	v_rcp_f32_e32 v10, v5
	v_fma_f32 v12, -v5, v10, 1.0
	v_fmac_f32_e32 v10, v12, v10
	v_mul_f32_e32 v12, v8, v10
	v_fma_f32 v13, -v5, v12, v8
	v_fmac_f32_e32 v12, v13, v10
	v_fma_f32 v5, -v5, v12, v8
	v_div_fmas_f32 v5, v5, v10, v12
	v_div_fixup_f32 v5, v5, v3, v1
.LBB18_1287:
	s_or_b64 exec, exec, s[4:5]
	s_lshr_b32 s0, s16, 16
	v_mov_b32_e32 v1, s11
	s_and_b32 s17, s0, 0xff
	v_add_co_u32_e32 v10, vcc, s10, v11
	s_cmp_lt_i32 s17, 11
	v_addc_co_u32_e32 v11, vcc, 0, v1, vcc
	s_cbranch_scc1 .LBB18_1294
; %bb.1288:
	s_and_b32 s18, 0xffff, s17
	s_cmp_gt_i32 s18, 25
	s_mov_b64 s[4:5], 0
	s_cbranch_scc0 .LBB18_1296
; %bb.1289:
	s_cmp_gt_i32 s18, 28
	s_cbranch_scc0 .LBB18_1297
; %bb.1290:
	s_cmp_gt_i32 s18, 43
	;; [unrolled: 3-line block ×3, first 2 shown]
	s_cbranch_scc0 .LBB18_1300
; %bb.1292:
	s_cmp_eq_u32 s18, 46
	s_mov_b64 s[12:13], 0
	s_cbranch_scc0 .LBB18_1303
; %bb.1293:
	global_load_dword v1, v[10:11], off
	s_mov_b64 s[0:1], 0
	s_mov_b64 s[6:7], -1
	s_waitcnt vmcnt(0)
	v_lshlrev_b32_e32 v1, 16, v1
	s_branch .LBB18_1304
.LBB18_1294:
	s_mov_b64 s[6:7], 0
                                        ; implicit-def: $vgpr1
	s_cbranch_execnz .LBB18_1369
.LBB18_1295:
	s_andn2_b64 vcc, exec, s[6:7]
	s_cbranch_vccnz .LBB18_1765
	s_branch .LBB18_1416
.LBB18_1296:
	s_mov_b64 s[6:7], 0
	s_mov_b64 s[0:1], 0
                                        ; implicit-def: $vgpr1
	s_cbranch_execnz .LBB18_1333
	s_branch .LBB18_1365
.LBB18_1297:
	s_mov_b64 s[12:13], -1
	s_mov_b64 s[6:7], 0
	s_mov_b64 s[0:1], 0
                                        ; implicit-def: $vgpr1
	s_branch .LBB18_1314
.LBB18_1298:
	s_mov_b64 s[12:13], -1
	s_mov_b64 s[6:7], 0
	s_mov_b64 s[0:1], 0
                                        ; implicit-def: $vgpr1
	s_branch .LBB18_1309
.LBB18_1299:
	s_or_b64 s[2:3], s[28:29], exec
	s_trap 2
	s_cbranch_execz .LBB18_1236
	s_branch .LBB18_1237
.LBB18_1300:
	s_mov_b64 s[12:13], -1
	s_mov_b64 s[6:7], 0
	s_mov_b64 s[0:1], 0
                                        ; implicit-def: $vgpr1
	s_branch .LBB18_1304
.LBB18_1301:
	s_andn2_saveexec_b64 s[16:17], s[16:17]
	s_cbranch_execz .LBB18_1027
.LBB18_1302:
	s_mov_b32 s20, 0x42800000
	v_add_f32_e64 v0, |v1|, s20
	v_and_b32_e32 v0, 0xff, v0
	v_cmp_ne_u32_e32 vcc, 0, v0
	s_andn2_b64 s[14:15], s[14:15], exec
	s_and_b64 s[20:21], vcc, exec
	s_or_b64 s[14:15], s[14:15], s[20:21]
	s_or_b64 exec, exec, s[16:17]
	v_mov_b32_e32 v2, 0
	s_and_saveexec_b64 s[16:17], s[14:15]
	s_cbranch_execnz .LBB18_1028
	s_branch .LBB18_1029
.LBB18_1303:
	s_mov_b64 s[0:1], -1
                                        ; implicit-def: $vgpr1
	s_mov_b64 s[6:7], 0
.LBB18_1304:
	s_and_b64 vcc, exec, s[12:13]
	s_cbranch_vccz .LBB18_1308
; %bb.1305:
	s_cmp_eq_u32 s18, 44
	s_cbranch_scc0 .LBB18_1307
; %bb.1306:
	global_load_ubyte v1, v[10:11], off
	s_movk_i32 s6, 0xff
	v_mov_b32_e32 v3, 0x7f800001
	v_mov_b32_e32 v8, 0x400000
	s_mov_b64 s[0:1], 0
	s_waitcnt vmcnt(0)
	v_lshlrev_b32_e32 v12, 23, v1
	v_cmp_ne_u32_e32 vcc, s6, v1
	v_cndmask_b32_e32 v3, v3, v12, vcc
	v_cmp_ne_u32_e32 vcc, 0, v1
	v_cndmask_b32_e32 v1, v8, v3, vcc
	s_mov_b64 s[6:7], -1
	s_branch .LBB18_1308
.LBB18_1307:
	s_mov_b64 s[0:1], -1
                                        ; implicit-def: $vgpr1
.LBB18_1308:
	s_mov_b64 s[12:13], 0
.LBB18_1309:
	s_and_b64 vcc, exec, s[12:13]
	s_cbranch_vccz .LBB18_1313
; %bb.1310:
	s_cmp_eq_u32 s18, 29
	s_cbranch_scc0 .LBB18_1312
; %bb.1311:
	global_load_dwordx2 v[12:13], v[10:11], off
	s_mov_b64 s[0:1], 0
	s_mov_b64 s[6:7], -1
	s_mov_b64 s[12:13], 0
	s_waitcnt vmcnt(0)
	v_ffbh_u32_e32 v1, v13
	v_min_u32_e32 v1, 32, v1
	v_lshlrev_b64 v[12:13], v1, v[12:13]
	v_sub_u32_e32 v1, 32, v1
	v_min_u32_e32 v3, 1, v12
	v_or_b32_e32 v3, v13, v3
	v_cvt_f32_u32_e32 v3, v3
	v_ldexp_f32 v1, v3, v1
	s_branch .LBB18_1314
.LBB18_1312:
	s_mov_b64 s[0:1], -1
                                        ; implicit-def: $vgpr1
.LBB18_1313:
	s_mov_b64 s[12:13], 0
.LBB18_1314:
	s_and_b64 vcc, exec, s[12:13]
	s_cbranch_vccz .LBB18_1332
; %bb.1315:
	s_cmp_lt_i32 s18, 27
	s_cbranch_scc1 .LBB18_1318
; %bb.1316:
	s_cmp_gt_i32 s18, 27
	s_cbranch_scc0 .LBB18_1319
; %bb.1317:
	global_load_dword v1, v[10:11], off
	s_mov_b64 s[6:7], 0
	s_waitcnt vmcnt(0)
	v_cvt_f32_u32_e32 v1, v1
	s_branch .LBB18_1320
.LBB18_1318:
	s_mov_b64 s[6:7], -1
                                        ; implicit-def: $vgpr1
	s_branch .LBB18_1323
.LBB18_1319:
	s_mov_b64 s[6:7], -1
                                        ; implicit-def: $vgpr1
.LBB18_1320:
	s_andn2_b64 vcc, exec, s[6:7]
	s_cbranch_vccnz .LBB18_1322
; %bb.1321:
	global_load_ushort v1, v[10:11], off
	s_waitcnt vmcnt(0)
	v_cvt_f32_u32_e32 v1, v1
.LBB18_1322:
	s_mov_b64 s[6:7], 0
.LBB18_1323:
	s_andn2_b64 vcc, exec, s[6:7]
	s_cbranch_vccnz .LBB18_1331
; %bb.1324:
	global_load_ubyte v3, v[10:11], off
	s_movk_i32 s6, 0x7f
	s_waitcnt vmcnt(0)
	v_cmp_lt_i16_e32 vcc, s6, v3
	s_mov_b64 s[6:7], 0
	s_and_saveexec_b64 s[12:13], vcc
	s_xor_b64 s[12:13], exec, s[12:13]
	s_cbranch_execz .LBB18_1344
; %bb.1325:
	s_movk_i32 s6, 0x80
	v_cmp_eq_u16_e32 vcc, s6, v3
	s_mov_b64 s[6:7], -1
	s_and_saveexec_b64 s[14:15], vcc
; %bb.1326:
	s_xor_b64 s[6:7], exec, -1
; %bb.1327:
	s_or_b64 exec, exec, s[14:15]
	s_and_b64 s[6:7], s[6:7], exec
	s_or_saveexec_b64 s[12:13], s[12:13]
	v_mov_b32_e32 v1, 0x7f800001
	s_xor_b64 exec, exec, s[12:13]
	s_cbranch_execnz .LBB18_1345
.LBB18_1328:
	s_or_b64 exec, exec, s[12:13]
	s_and_saveexec_b64 s[12:13], s[6:7]
	s_cbranch_execz .LBB18_1330
.LBB18_1329:
	v_lshlrev_b32_e32 v1, 24, v3
	v_and_b32_e32 v3, 0xffff, v3
	v_and_b32_e32 v8, 7, v3
	v_ffbh_u32_e32 v13, v8
	v_min_u32_e32 v13, 32, v13
	v_subrev_u32_e32 v14, 28, v13
	v_bfe_u32 v12, v3, 3, 4
	v_lshlrev_b32_e32 v3, v14, v3
	v_sub_u32_e32 v13, 29, v13
	v_and_b32_e32 v3, 7, v3
	v_cmp_eq_u32_e32 vcc, 0, v12
	v_cndmask_b32_e32 v12, v12, v13, vcc
	v_cndmask_b32_e32 v3, v8, v3, vcc
	v_mov_b32_e32 v8, 0x3b800000
	v_lshlrev_b32_e32 v3, 20, v3
	v_and_b32_e32 v1, 0x80000000, v1
	v_lshl_add_u32 v8, v12, 23, v8
	v_or3_b32 v1, v1, v8, v3
.LBB18_1330:
	s_or_b64 exec, exec, s[12:13]
.LBB18_1331:
	s_mov_b64 s[6:7], -1
.LBB18_1332:
	s_branch .LBB18_1365
.LBB18_1333:
	s_cmp_gt_i32 s18, 22
	s_cbranch_scc0 .LBB18_1343
; %bb.1334:
	s_cmp_lt_i32 s18, 24
	s_cbranch_scc1 .LBB18_1346
; %bb.1335:
	s_cmp_gt_i32 s18, 24
	s_cbranch_scc0 .LBB18_1347
; %bb.1336:
	global_load_ubyte v3, v[10:11], off
	s_movk_i32 s4, 0x7f
	s_waitcnt vmcnt(0)
	v_cmp_lt_i16_e32 vcc, s4, v3
	s_mov_b64 s[4:5], 0
	s_and_saveexec_b64 s[6:7], vcc
	s_xor_b64 s[6:7], exec, s[6:7]
	s_cbranch_execz .LBB18_1359
; %bb.1337:
	s_movk_i32 s4, 0x80
	v_cmp_eq_u16_e32 vcc, s4, v3
	s_mov_b64 s[4:5], -1
	s_and_saveexec_b64 s[12:13], vcc
; %bb.1338:
	s_xor_b64 s[4:5], exec, -1
; %bb.1339:
	s_or_b64 exec, exec, s[12:13]
	s_and_b64 s[4:5], s[4:5], exec
	s_or_saveexec_b64 s[6:7], s[6:7]
	v_mov_b32_e32 v1, 0x7f800001
	s_xor_b64 exec, exec, s[6:7]
	s_cbranch_execnz .LBB18_1360
.LBB18_1340:
	s_or_b64 exec, exec, s[6:7]
	s_and_saveexec_b64 s[6:7], s[4:5]
	s_cbranch_execz .LBB18_1342
.LBB18_1341:
	v_lshlrev_b32_e32 v1, 24, v3
	v_and_b32_e32 v3, 0xffff, v3
	v_and_b32_e32 v8, 3, v3
	v_ffbh_u32_e32 v13, v8
	v_min_u32_e32 v13, 32, v13
	v_subrev_u32_e32 v14, 29, v13
	v_bfe_u32 v12, v3, 2, 5
	v_lshlrev_b32_e32 v3, v14, v3
	v_sub_u32_e32 v13, 30, v13
	v_and_b32_e32 v3, 3, v3
	v_cmp_eq_u32_e32 vcc, 0, v12
	v_cndmask_b32_e32 v12, v12, v13, vcc
	v_cndmask_b32_e32 v3, v8, v3, vcc
	v_mov_b32_e32 v8, 0x37800000
	v_lshlrev_b32_e32 v3, 21, v3
	v_and_b32_e32 v1, 0x80000000, v1
	v_lshl_add_u32 v8, v12, 23, v8
	v_or3_b32 v1, v1, v8, v3
.LBB18_1342:
	s_or_b64 exec, exec, s[6:7]
	s_mov_b64 s[4:5], 0
	s_branch .LBB18_1348
.LBB18_1343:
	s_mov_b64 s[4:5], -1
                                        ; implicit-def: $vgpr1
	s_branch .LBB18_1354
.LBB18_1344:
	s_or_saveexec_b64 s[12:13], s[12:13]
	v_mov_b32_e32 v1, 0x7f800001
	s_xor_b64 exec, exec, s[12:13]
	s_cbranch_execz .LBB18_1328
.LBB18_1345:
	v_cmp_ne_u16_e32 vcc, 0, v3
	s_andn2_b64 s[6:7], s[6:7], exec
	s_and_b64 s[14:15], vcc, exec
	v_mov_b32_e32 v1, 0
	s_or_b64 s[6:7], s[6:7], s[14:15]
	s_or_b64 exec, exec, s[12:13]
	s_and_saveexec_b64 s[12:13], s[6:7]
	s_cbranch_execnz .LBB18_1329
	s_branch .LBB18_1330
.LBB18_1346:
	s_mov_b64 s[4:5], -1
                                        ; implicit-def: $vgpr1
	s_branch .LBB18_1351
.LBB18_1347:
	s_mov_b64 s[4:5], -1
                                        ; implicit-def: $vgpr1
.LBB18_1348:
	s_and_b64 vcc, exec, s[4:5]
	s_cbranch_vccz .LBB18_1350
; %bb.1349:
	global_load_ubyte v1, v[10:11], off
	s_mov_b32 s4, 0x7f800000
	s_waitcnt vmcnt(0)
	v_lshlrev_b32_e32 v1, 24, v1
	v_and_b32_e32 v3, 0x7f000000, v1
	v_ffbh_u32_e32 v8, v3
	v_min_u32_e32 v8, 32, v8
	v_sub_u32_e64 v8, v8, 4 clamp
	v_lshlrev_b32_e32 v13, v8, v3
	v_lshlrev_b32_e32 v8, 23, v8
	v_lshrrev_b32_e32 v13, 4, v13
	v_add_u32_e32 v12, 0x1000000, v3
	v_sub_u32_e32 v8, v13, v8
	v_ashrrev_i32_e32 v12, 8, v12
	v_add_u32_e32 v8, 0x3c000000, v8
	v_and_or_b32 v8, v12, s4, v8
	v_cmp_ne_u32_e32 vcc, 0, v3
	v_cndmask_b32_e32 v3, 0, v8, vcc
	s_brev_b32 s4, 1
	v_and_or_b32 v1, v1, s4, v3
.LBB18_1350:
	s_mov_b64 s[4:5], 0
.LBB18_1351:
	s_andn2_b64 vcc, exec, s[4:5]
	s_cbranch_vccnz .LBB18_1353
; %bb.1352:
	global_load_ubyte v1, v[10:11], off
	s_movk_i32 s4, 0x7f00
	s_brev_b32 s5, 16
	s_waitcnt vmcnt(0)
	v_lshlrev_b16_e32 v3, 8, v1
	v_lshlrev_b32_e32 v1, 25, v1
	v_lshrrev_b32_e32 v8, 4, v1
	v_and_or_b32 v12, v3, s4, 0.5
	v_or_b32_e32 v8, 0x70000000, v8
	v_add_f32_e32 v12, -0.5, v12
	v_mul_f32_e32 v8, 0x7800000, v8
	v_cmp_gt_u32_e32 vcc, s5, v1
	v_bfe_i32 v3, v3, 0, 16
	v_cndmask_b32_e32 v1, v8, v12, vcc
	s_brev_b32 s4, 1
	v_and_or_b32 v1, v3, s4, v1
.LBB18_1353:
	s_mov_b64 s[4:5], 0
	s_mov_b64 s[6:7], -1
.LBB18_1354:
	s_andn2_b64 vcc, exec, s[4:5]
	s_mov_b64 s[4:5], 0
	s_cbranch_vccnz .LBB18_1365
; %bb.1355:
	s_cmp_gt_i32 s18, 14
	s_cbranch_scc0 .LBB18_1358
; %bb.1356:
	s_cmp_eq_u32 s18, 15
	s_cbranch_scc0 .LBB18_1361
; %bb.1357:
	global_load_ushort v1, v[10:11], off
	s_mov_b64 s[0:1], 0
	s_mov_b64 s[6:7], -1
	s_waitcnt vmcnt(0)
	v_lshlrev_b32_e32 v1, 16, v1
	s_branch .LBB18_1362
.LBB18_1358:
	s_mov_b64 s[12:13], -1
                                        ; implicit-def: $vgpr1
	s_branch .LBB18_1363
.LBB18_1359:
	s_or_saveexec_b64 s[6:7], s[6:7]
	v_mov_b32_e32 v1, 0x7f800001
	s_xor_b64 exec, exec, s[6:7]
	s_cbranch_execz .LBB18_1340
.LBB18_1360:
	v_cmp_ne_u16_e32 vcc, 0, v3
	s_andn2_b64 s[4:5], s[4:5], exec
	s_and_b64 s[12:13], vcc, exec
	v_mov_b32_e32 v1, 0
	s_or_b64 s[4:5], s[4:5], s[12:13]
	s_or_b64 exec, exec, s[6:7]
	s_and_saveexec_b64 s[6:7], s[4:5]
	s_cbranch_execnz .LBB18_1341
	s_branch .LBB18_1342
.LBB18_1361:
	s_mov_b64 s[0:1], -1
                                        ; implicit-def: $vgpr1
.LBB18_1362:
	s_mov_b64 s[12:13], 0
.LBB18_1363:
	s_and_b64 vcc, exec, s[12:13]
	s_cbranch_vccz .LBB18_1365
; %bb.1364:
	s_cmp_lg_u32 s18, 11
	s_mov_b64 s[4:5], -1
	s_cselect_b64 s[0:1], -1, 0
.LBB18_1365:
	s_and_b64 vcc, exec, s[0:1]
	s_cbranch_vccnz .LBB18_1432
; %bb.1366:
	s_andn2_b64 vcc, exec, s[4:5]
	s_cbranch_vccnz .LBB18_1368
.LBB18_1367:
	global_load_ubyte v1, v[10:11], off
	s_mov_b64 s[6:7], -1
	s_waitcnt vmcnt(0)
	v_cmp_ne_u16_e32 vcc, 0, v1
	v_cndmask_b32_e64 v1, 0, 1.0, vcc
.LBB18_1368:
	s_branch .LBB18_1295
.LBB18_1369:
	s_and_b32 s4, 0xffff, s17
	s_cmp_lt_i32 s4, 5
	s_cbranch_scc1 .LBB18_1374
; %bb.1370:
	s_cmp_lt_i32 s4, 8
	s_cbranch_scc1 .LBB18_1375
; %bb.1371:
	;; [unrolled: 3-line block ×3, first 2 shown]
	s_cmp_gt_i32 s4, 9
	s_cbranch_scc0 .LBB18_1377
; %bb.1373:
	global_load_dwordx2 v[12:13], v[10:11], off
	s_mov_b64 s[0:1], 0
	s_waitcnt vmcnt(0)
	v_cvt_f32_f64_e32 v1, v[12:13]
	s_branch .LBB18_1378
.LBB18_1374:
                                        ; implicit-def: $vgpr1
	s_branch .LBB18_1396
.LBB18_1375:
	s_mov_b64 s[0:1], -1
                                        ; implicit-def: $vgpr1
	s_branch .LBB18_1384
.LBB18_1376:
	s_mov_b64 s[0:1], -1
                                        ; implicit-def: $vgpr1
	s_branch .LBB18_1381
.LBB18_1377:
	s_mov_b64 s[0:1], -1
                                        ; implicit-def: $vgpr1
.LBB18_1378:
	s_andn2_b64 vcc, exec, s[0:1]
	s_cbranch_vccnz .LBB18_1380
; %bb.1379:
	global_load_dword v1, v[10:11], off
.LBB18_1380:
	s_mov_b64 s[0:1], 0
.LBB18_1381:
	s_andn2_b64 vcc, exec, s[0:1]
	s_cbranch_vccnz .LBB18_1383
; %bb.1382:
	global_load_dword v1, v[10:11], off
	s_waitcnt vmcnt(0)
	v_cvt_f32_f16_e32 v1, v1
.LBB18_1383:
	s_mov_b64 s[0:1], 0
.LBB18_1384:
	s_andn2_b64 vcc, exec, s[0:1]
	s_cbranch_vccnz .LBB18_1395
; %bb.1385:
	s_cmp_lt_i32 s4, 6
	s_cbranch_scc1 .LBB18_1388
; %bb.1386:
	s_cmp_gt_i32 s4, 6
	s_cbranch_scc0 .LBB18_1389
; %bb.1387:
	global_load_dwordx2 v[12:13], v[10:11], off
	s_mov_b64 s[0:1], 0
	s_waitcnt vmcnt(0)
	v_cvt_f32_f64_e32 v1, v[12:13]
	s_branch .LBB18_1390
.LBB18_1388:
	s_mov_b64 s[0:1], -1
                                        ; implicit-def: $vgpr1
	s_branch .LBB18_1393
.LBB18_1389:
	s_mov_b64 s[0:1], -1
                                        ; implicit-def: $vgpr1
.LBB18_1390:
	s_andn2_b64 vcc, exec, s[0:1]
	s_cbranch_vccnz .LBB18_1392
; %bb.1391:
	global_load_dword v1, v[10:11], off
.LBB18_1392:
	s_mov_b64 s[0:1], 0
.LBB18_1393:
	s_andn2_b64 vcc, exec, s[0:1]
	s_cbranch_vccnz .LBB18_1395
; %bb.1394:
	global_load_ushort v1, v[10:11], off
	s_waitcnt vmcnt(0)
	v_cvt_f32_f16_e32 v1, v1
.LBB18_1395:
	s_cbranch_execnz .LBB18_1415
.LBB18_1396:
	s_cmp_lt_i32 s4, 2
	s_cbranch_scc1 .LBB18_1400
; %bb.1397:
	s_cmp_lt_i32 s4, 3
	s_cbranch_scc1 .LBB18_1401
; %bb.1398:
	s_cmp_gt_i32 s4, 3
	s_cbranch_scc0 .LBB18_1402
; %bb.1399:
	global_load_dwordx2 v[12:13], v[10:11], off
	s_mov_b64 s[0:1], 0
	s_waitcnt vmcnt(0)
	v_xor_b32_e32 v3, v12, v13
	v_ffbh_i32_e32 v1, v13
	v_ashrrev_i32_e32 v3, 31, v3
	v_add_u32_e32 v1, -1, v1
	v_add_u32_e32 v3, 32, v3
	v_min_u32_e32 v1, v1, v3
	v_lshlrev_b64 v[12:13], v1, v[12:13]
	v_sub_u32_e32 v1, 32, v1
	v_min_u32_e32 v3, 1, v12
	v_or_b32_e32 v3, v13, v3
	v_cvt_f32_i32_e32 v3, v3
	v_ldexp_f32 v1, v3, v1
	s_branch .LBB18_1403
.LBB18_1400:
	s_mov_b64 s[0:1], -1
                                        ; implicit-def: $vgpr1
	s_branch .LBB18_1409
.LBB18_1401:
	s_mov_b64 s[0:1], -1
                                        ; implicit-def: $vgpr1
	s_branch .LBB18_1406
.LBB18_1402:
	s_mov_b64 s[0:1], -1
                                        ; implicit-def: $vgpr1
.LBB18_1403:
	s_andn2_b64 vcc, exec, s[0:1]
	s_cbranch_vccnz .LBB18_1405
; %bb.1404:
	global_load_dword v1, v[10:11], off
	s_waitcnt vmcnt(0)
	v_cvt_f32_i32_e32 v1, v1
.LBB18_1405:
	s_mov_b64 s[0:1], 0
.LBB18_1406:
	s_andn2_b64 vcc, exec, s[0:1]
	s_cbranch_vccnz .LBB18_1408
; %bb.1407:
	global_load_sshort v1, v[10:11], off
	s_waitcnt vmcnt(0)
	v_cvt_f32_i32_e32 v1, v1
.LBB18_1408:
	s_mov_b64 s[0:1], 0
.LBB18_1409:
	s_andn2_b64 vcc, exec, s[0:1]
	s_cbranch_vccnz .LBB18_1415
; %bb.1410:
	s_cmp_gt_i32 s4, 0
	s_cbranch_scc0 .LBB18_1412
; %bb.1411:
	global_load_sbyte v1, v[10:11], off
	s_mov_b64 s[0:1], 0
	s_waitcnt vmcnt(0)
	v_cvt_f32_i32_e32 v1, v1
	s_branch .LBB18_1413
.LBB18_1412:
	s_mov_b64 s[0:1], -1
                                        ; implicit-def: $vgpr1
.LBB18_1413:
	s_andn2_b64 vcc, exec, s[0:1]
	s_cbranch_vccnz .LBB18_1415
; %bb.1414:
	global_load_ubyte v1, v[10:11], off
	s_waitcnt vmcnt(0)
	v_cvt_f32_ubyte0_e32 v1, v1
.LBB18_1415:
.LBB18_1416:
	s_mov_b32 s0, 0x41000000
	s_waitcnt vmcnt(0)
	v_cmp_le_f32_e64 s[0:1], |v1|, s0
                                        ; implicit-def: $vgpr3
	s_and_saveexec_b64 s[4:5], s[0:1]
	s_xor_b64 s[0:1], exec, s[4:5]
	s_cbranch_execz .LBB18_1418
; %bb.1417:
	v_fma_f32 v3, |v1|, 0.5, -2.0
	v_mov_b32_e32 v8, 0x24199b15
	v_fmac_f32_e32 v8, 0xa2a2e5b9, v3
	v_mov_b32_e32 v10, 0x22a2e5b9
	v_fmac_f32_e32 v10, v3, v8
	v_add_f32_e32 v10, 0xa58c275c, v10
	v_fma_f32 v8, v3, v10, -v8
	v_add_f32_e32 v8, 0x26f736c5, v8
	v_fma_f32 v10, v3, v8, -v10
	;; [unrolled: 2-line block ×22, first 2 shown]
	v_add_f32_e32 v10, 0xbcc274f8, v10
	s_mov_b32 s4, 0x3fb8aa3b
	v_fma_f32 v8, v3, v10, -v8
	v_mul_f32_e64 v11, |v1|, s4
	v_add_f32_e32 v8, 0x3d49f456, v8
	v_rndne_f32_e32 v12, v11
	v_fma_f32 v10, v3, v8, -v10
	v_sub_f32_e32 v13, v11, v12
	v_fma_f32 v11, |v1|, s4, -v11
	s_mov_b32 s4, 0x32a5705f
	v_add_f32_e32 v10, 0xbdc25b82, v10
	v_fma_f32 v11, |v1|, s4, v11
	v_fma_f32 v8, v3, v10, -v8
	v_add_f32_e32 v11, v13, v11
	v_add_f32_e32 v8, 0x3e2fbd64, v8
	v_exp_f32_e32 v11, v11
	v_cvt_i32_f32_e32 v12, v12
	v_fma_f32 v10, v3, v8, -v10
	v_add_f32_e32 v10, 0xbe9bff5e, v10
	v_fma_f32 v3, v3, v10, -v8
	s_mov_b32 s4, 0xc2ce8ed0
	v_add_f32_e32 v3, 0x3f2d4275, v3
	v_ldexp_f32 v10, v11, v12
	v_cmp_nlt_f32_e64 vcc, |v1|, s4
	s_mov_b32 s4, 0x42b17218
	v_cndmask_b32_e32 v10, 0, v10, vcc
	v_mov_b32_e32 v11, 0x7f800000
	v_cmp_ngt_f32_e64 vcc, |v1|, s4
	v_sub_f32_e32 v3, v3, v8
	v_cndmask_b32_e32 v1, v11, v10, vcc
	v_mul_f32_e32 v3, 0.5, v3
	v_mul_f32_e32 v3, v1, v3
                                        ; implicit-def: $vgpr1
.LBB18_1418:
	s_andn2_saveexec_b64 s[4:5], s[0:1]
	s_cbranch_execz .LBB18_1420
; %bb.1419:
	v_and_b32_e32 v3, 0x7fffffff, v1
	s_mov_b32 s6, 0x42000000
	v_div_scale_f32 v8, s[0:1], v3, v3, s6
	v_div_scale_f32 v3, vcc, s6, v3, s6
	s_mov_b32 s0, 0x3fb8aa3b
	v_mul_f32_e64 v12, |v1|, s0
	s_mov_b32 s1, 0x32a5705f
	v_rndne_f32_e32 v15, v12
	v_fma_f32 v16, |v1|, s0, -v12
	s_mov_b32 s13, 0xf800000
	s_mov_b32 s14, 0x4f800000
	v_sub_f32_e32 v12, v12, v15
	v_mul_f32_e64 v14, |v1|, s14
	s_mov_b32 s7, 0xc2ce8ed0
	s_mov_b32 s12, 0x42b17218
	v_mov_b32_e32 v10, 0xa2b236d3
	v_rcp_f32_e32 v13, v8
	v_mov_b32_e32 v11, 0x23056dbb
	v_fma_f32 v17, -v8, v13, 1.0
	v_fmac_f32_e32 v13, v17, v13
	v_mul_f32_e32 v17, v3, v13
	v_fma_f32 v18, -v8, v17, v3
	v_fmac_f32_e32 v17, v18, v13
	v_fma_f32 v3, -v8, v17, v3
	v_div_fmas_f32 v3, v3, v13, v17
	v_fma_f32 v13, |v1|, s1, v16
	v_cmp_lt_f32_e64 vcc, |v1|, s13
	v_add_f32_e32 v12, v12, v13
	v_cndmask_b32_e64 v8, |v1|, v14, vcc
	v_cvt_i32_f32_e32 v14, v15
	v_exp_f32_e32 v12, v12
	v_cmp_nlt_f32_e64 s[0:1], |v1|, s7
	v_sqrt_f32_e32 v15, v8
	v_mov_b32_e32 v13, 0x7f800000
	v_ldexp_f32 v12, v12, v14
	v_cndmask_b32_e64 v12, 0, v12, s[0:1]
	v_cmp_ngt_f32_e64 s[0:1], |v1|, s12
	v_add_u32_e32 v16, -1, v15
	v_fma_f32 v17, -v16, v15, v8
	v_cndmask_b32_e64 v12, v13, v12, s[0:1]
	v_div_fixup_f32 v1, v3, |v1|, s6
	v_add_f32_e32 v1, -2.0, v1
	v_fmac_f32_e32 v10, 0xa3056dbb, v1
	v_fmac_f32_e32 v11, v1, v10
	v_add_f32_e32 v3, 0x244df0c1, v11
	v_fma_f32 v10, v1, v3, -v10
	v_add_f32_e32 v10, 0x241f9ee8, v10
	v_fma_f32 v3, v1, v10, -v3
	;; [unrolled: 2-line block ×22, first 2 shown]
	v_add_u32_e32 v10, 1, v15
	v_add_f32_e32 v1, 0x3f4df315, v1
	v_cmp_ge_f32_e64 s[0:1], 0, v17
	v_fma_f32 v11, -v10, v15, v8
	v_sub_f32_e32 v1, v1, v3
	v_cndmask_b32_e64 v3, v15, v16, s[0:1]
	v_cmp_lt_f32_e64 s[0:1], 0, v11
	v_cndmask_b32_e64 v3, v3, v10, s[0:1]
	v_mul_f32_e32 v10, 0x37800000, v3
	v_cndmask_b32_e32 v3, v3, v10, vcc
	v_mov_b32_e32 v10, 0x260
	v_mul_f32_e32 v1, 0.5, v1
	v_cmp_class_f32_e32 vcc, v8, v10
	v_mul_f32_e32 v1, v12, v1
	v_cndmask_b32_e32 v3, v3, v8, vcc
	v_div_scale_f32 v8, s[0:1], v3, v3, v1
	v_div_scale_f32 v10, vcc, v1, v3, v1
	v_rcp_f32_e32 v11, v8
	v_fma_f32 v12, -v8, v11, 1.0
	v_fmac_f32_e32 v11, v12, v11
	v_mul_f32_e32 v12, v10, v11
	v_fma_f32 v13, -v8, v12, v10
	v_fmac_f32_e32 v12, v13, v11
	v_fma_f32 v8, -v8, v12, v10
	v_div_fmas_f32 v8, v8, v11, v12
	v_div_fixup_f32 v3, v8, v3, v1
.LBB18_1420:
	s_or_b64 exec, exec, s[4:5]
	v_mov_b32_e32 v1, s11
	v_add_co_u32_e32 v8, vcc, s10, v9
	s_cmp_lt_i32 s17, 11
	v_addc_co_u32_e32 v9, vcc, 0, v1, vcc
	s_cbranch_scc1 .LBB18_1427
; %bb.1421:
	s_and_b32 s18, 0xffff, s17
	s_cmp_gt_i32 s18, 25
	s_mov_b64 s[4:5], 0
	s_cbranch_scc0 .LBB18_1429
; %bb.1422:
	s_cmp_gt_i32 s18, 28
	s_cbranch_scc0 .LBB18_1430
; %bb.1423:
	s_cmp_gt_i32 s18, 43
	;; [unrolled: 3-line block ×3, first 2 shown]
	s_cbranch_scc0 .LBB18_1433
; %bb.1425:
	s_cmp_eq_u32 s18, 46
	s_mov_b64 s[12:13], 0
	s_cbranch_scc0 .LBB18_1434
; %bb.1426:
	global_load_dword v1, v[8:9], off
	s_mov_b64 s[0:1], 0
	s_mov_b64 s[6:7], -1
	s_waitcnt vmcnt(0)
	v_lshlrev_b32_e32 v10, 16, v1
	s_branch .LBB18_1435
.LBB18_1427:
	s_mov_b64 s[6:7], 0
                                        ; implicit-def: $vgpr10
	s_cbranch_execnz .LBB18_1501
.LBB18_1428:
	s_andn2_b64 vcc, exec, s[6:7]
	s_cbranch_vccnz .LBB18_1765
	s_branch .LBB18_1549
.LBB18_1429:
	s_mov_b64 s[12:13], -1
	s_mov_b64 s[6:7], 0
	s_mov_b64 s[0:1], 0
                                        ; implicit-def: $vgpr10
	s_branch .LBB18_1464
.LBB18_1430:
	s_mov_b64 s[12:13], -1
	s_mov_b64 s[6:7], 0
	s_mov_b64 s[0:1], 0
                                        ; implicit-def: $vgpr10
	s_branch .LBB18_1445
.LBB18_1431:
	s_mov_b64 s[12:13], -1
	s_mov_b64 s[6:7], 0
	s_mov_b64 s[0:1], 0
                                        ; implicit-def: $vgpr10
	s_branch .LBB18_1440
.LBB18_1432:
	s_trap 2
	s_or_b64 s[2:3], s[2:3], exec
	s_cbranch_execz .LBB18_1367
	s_branch .LBB18_1368
.LBB18_1433:
	s_mov_b64 s[12:13], -1
	s_mov_b64 s[6:7], 0
	s_mov_b64 s[0:1], 0
                                        ; implicit-def: $vgpr10
	s_branch .LBB18_1435
.LBB18_1434:
	s_mov_b64 s[0:1], -1
                                        ; implicit-def: $vgpr10
	s_mov_b64 s[6:7], 0
.LBB18_1435:
	s_and_b64 vcc, exec, s[12:13]
	s_cbranch_vccz .LBB18_1439
; %bb.1436:
	s_cmp_eq_u32 s18, 44
	s_cbranch_scc0 .LBB18_1438
; %bb.1437:
	global_load_ubyte v1, v[8:9], off
	s_movk_i32 s6, 0xff
	v_mov_b32_e32 v10, 0x7f800001
	v_mov_b32_e32 v11, 0x400000
	s_mov_b64 s[0:1], 0
	s_waitcnt vmcnt(0)
	v_lshlrev_b32_e32 v12, 23, v1
	v_cmp_ne_u32_e32 vcc, s6, v1
	v_cndmask_b32_e32 v10, v10, v12, vcc
	v_cmp_ne_u32_e32 vcc, 0, v1
	v_cndmask_b32_e32 v10, v11, v10, vcc
	s_mov_b64 s[6:7], -1
	s_branch .LBB18_1439
.LBB18_1438:
	s_mov_b64 s[0:1], -1
                                        ; implicit-def: $vgpr10
.LBB18_1439:
	s_mov_b64 s[12:13], 0
.LBB18_1440:
	s_and_b64 vcc, exec, s[12:13]
	s_cbranch_vccz .LBB18_1444
; %bb.1441:
	s_cmp_eq_u32 s18, 29
	s_cbranch_scc0 .LBB18_1443
; %bb.1442:
	global_load_dwordx2 v[10:11], v[8:9], off
	s_mov_b64 s[0:1], 0
	s_mov_b64 s[6:7], -1
	s_mov_b64 s[12:13], 0
	s_waitcnt vmcnt(0)
	v_ffbh_u32_e32 v1, v11
	v_min_u32_e32 v1, 32, v1
	v_lshlrev_b64 v[10:11], v1, v[10:11]
	v_sub_u32_e32 v1, 32, v1
	v_min_u32_e32 v10, 1, v10
	v_or_b32_e32 v10, v11, v10
	v_cvt_f32_u32_e32 v10, v10
	v_ldexp_f32 v10, v10, v1
	s_branch .LBB18_1445
.LBB18_1443:
	s_mov_b64 s[0:1], -1
                                        ; implicit-def: $vgpr10
.LBB18_1444:
	s_mov_b64 s[12:13], 0
.LBB18_1445:
	s_and_b64 vcc, exec, s[12:13]
	s_cbranch_vccz .LBB18_1463
; %bb.1446:
	s_cmp_lt_i32 s18, 27
	s_cbranch_scc1 .LBB18_1449
; %bb.1447:
	s_cmp_gt_i32 s18, 27
	s_cbranch_scc0 .LBB18_1450
; %bb.1448:
	global_load_dword v1, v[8:9], off
	s_mov_b64 s[6:7], 0
	s_waitcnt vmcnt(0)
	v_cvt_f32_u32_e32 v10, v1
	s_branch .LBB18_1451
.LBB18_1449:
	s_mov_b64 s[6:7], -1
                                        ; implicit-def: $vgpr10
	s_branch .LBB18_1454
.LBB18_1450:
	s_mov_b64 s[6:7], -1
                                        ; implicit-def: $vgpr10
.LBB18_1451:
	s_andn2_b64 vcc, exec, s[6:7]
	s_cbranch_vccnz .LBB18_1453
; %bb.1452:
	global_load_ushort v1, v[8:9], off
	s_waitcnt vmcnt(0)
	v_cvt_f32_u32_e32 v10, v1
.LBB18_1453:
	s_mov_b64 s[6:7], 0
.LBB18_1454:
	s_andn2_b64 vcc, exec, s[6:7]
	s_cbranch_vccnz .LBB18_1462
; %bb.1455:
	global_load_ubyte v1, v[8:9], off
	s_movk_i32 s6, 0x7f
	s_waitcnt vmcnt(0)
	v_cmp_lt_i16_e32 vcc, s6, v1
	s_mov_b64 s[6:7], 0
	s_and_saveexec_b64 s[12:13], vcc
	s_xor_b64 s[12:13], exec, s[12:13]
	s_cbranch_execz .LBB18_1476
; %bb.1456:
	s_movk_i32 s6, 0x80
	v_cmp_eq_u16_e32 vcc, s6, v1
	s_mov_b64 s[6:7], -1
	s_and_saveexec_b64 s[14:15], vcc
; %bb.1457:
	s_xor_b64 s[6:7], exec, -1
; %bb.1458:
	s_or_b64 exec, exec, s[14:15]
	s_and_b64 s[6:7], s[6:7], exec
	s_or_saveexec_b64 s[12:13], s[12:13]
	v_mov_b32_e32 v10, 0x7f800001
	s_xor_b64 exec, exec, s[12:13]
	s_cbranch_execnz .LBB18_1477
.LBB18_1459:
	s_or_b64 exec, exec, s[12:13]
	s_and_saveexec_b64 s[12:13], s[6:7]
	s_cbranch_execz .LBB18_1461
.LBB18_1460:
	v_lshlrev_b32_e32 v10, 24, v1
	v_and_b32_e32 v1, 0xffff, v1
	v_and_b32_e32 v11, 7, v1
	v_ffbh_u32_e32 v13, v11
	v_min_u32_e32 v13, 32, v13
	v_subrev_u32_e32 v14, 28, v13
	v_bfe_u32 v12, v1, 3, 4
	v_lshlrev_b32_e32 v1, v14, v1
	v_sub_u32_e32 v13, 29, v13
	v_and_b32_e32 v1, 7, v1
	v_cmp_eq_u32_e32 vcc, 0, v12
	v_cndmask_b32_e32 v12, v12, v13, vcc
	v_cndmask_b32_e32 v1, v11, v1, vcc
	v_mov_b32_e32 v11, 0x3b800000
	v_lshlrev_b32_e32 v1, 20, v1
	v_and_b32_e32 v10, 0x80000000, v10
	v_lshl_add_u32 v11, v12, 23, v11
	v_or3_b32 v10, v10, v11, v1
.LBB18_1461:
	s_or_b64 exec, exec, s[12:13]
.LBB18_1462:
	s_mov_b64 s[6:7], -1
.LBB18_1463:
	s_mov_b64 s[12:13], 0
.LBB18_1464:
	s_and_b64 vcc, exec, s[12:13]
	s_cbranch_vccz .LBB18_1497
; %bb.1465:
	s_cmp_gt_i32 s18, 22
	s_cbranch_scc0 .LBB18_1475
; %bb.1466:
	s_cmp_lt_i32 s18, 24
	s_cbranch_scc1 .LBB18_1478
; %bb.1467:
	s_cmp_gt_i32 s18, 24
	s_cbranch_scc0 .LBB18_1479
; %bb.1468:
	global_load_ubyte v1, v[8:9], off
	s_movk_i32 s4, 0x7f
	s_waitcnt vmcnt(0)
	v_cmp_lt_i16_e32 vcc, s4, v1
	s_mov_b64 s[4:5], 0
	s_and_saveexec_b64 s[6:7], vcc
	s_xor_b64 s[6:7], exec, s[6:7]
	s_cbranch_execz .LBB18_1491
; %bb.1469:
	s_movk_i32 s4, 0x80
	v_cmp_eq_u16_e32 vcc, s4, v1
	s_mov_b64 s[4:5], -1
	s_and_saveexec_b64 s[12:13], vcc
; %bb.1470:
	s_xor_b64 s[4:5], exec, -1
; %bb.1471:
	s_or_b64 exec, exec, s[12:13]
	s_and_b64 s[4:5], s[4:5], exec
	s_or_saveexec_b64 s[6:7], s[6:7]
	v_mov_b32_e32 v10, 0x7f800001
	s_xor_b64 exec, exec, s[6:7]
	s_cbranch_execnz .LBB18_1492
.LBB18_1472:
	s_or_b64 exec, exec, s[6:7]
	s_and_saveexec_b64 s[6:7], s[4:5]
	s_cbranch_execz .LBB18_1474
.LBB18_1473:
	v_lshlrev_b32_e32 v10, 24, v1
	v_and_b32_e32 v1, 0xffff, v1
	v_and_b32_e32 v11, 3, v1
	v_ffbh_u32_e32 v13, v11
	v_min_u32_e32 v13, 32, v13
	v_subrev_u32_e32 v14, 29, v13
	v_bfe_u32 v12, v1, 2, 5
	v_lshlrev_b32_e32 v1, v14, v1
	v_sub_u32_e32 v13, 30, v13
	v_and_b32_e32 v1, 3, v1
	v_cmp_eq_u32_e32 vcc, 0, v12
	v_cndmask_b32_e32 v12, v12, v13, vcc
	v_cndmask_b32_e32 v1, v11, v1, vcc
	v_mov_b32_e32 v11, 0x37800000
	v_lshlrev_b32_e32 v1, 21, v1
	v_and_b32_e32 v10, 0x80000000, v10
	v_lshl_add_u32 v11, v12, 23, v11
	v_or3_b32 v10, v10, v11, v1
.LBB18_1474:
	s_or_b64 exec, exec, s[6:7]
	s_mov_b64 s[4:5], 0
	s_branch .LBB18_1480
.LBB18_1475:
	s_mov_b64 s[4:5], -1
                                        ; implicit-def: $vgpr10
	s_branch .LBB18_1486
.LBB18_1476:
	s_or_saveexec_b64 s[12:13], s[12:13]
	v_mov_b32_e32 v10, 0x7f800001
	s_xor_b64 exec, exec, s[12:13]
	s_cbranch_execz .LBB18_1459
.LBB18_1477:
	v_cmp_ne_u16_e32 vcc, 0, v1
	s_andn2_b64 s[6:7], s[6:7], exec
	s_and_b64 s[14:15], vcc, exec
	v_mov_b32_e32 v10, 0
	s_or_b64 s[6:7], s[6:7], s[14:15]
	s_or_b64 exec, exec, s[12:13]
	s_and_saveexec_b64 s[12:13], s[6:7]
	s_cbranch_execnz .LBB18_1460
	s_branch .LBB18_1461
.LBB18_1478:
	s_mov_b64 s[4:5], -1
                                        ; implicit-def: $vgpr10
	s_branch .LBB18_1483
.LBB18_1479:
	s_mov_b64 s[4:5], -1
                                        ; implicit-def: $vgpr10
.LBB18_1480:
	s_and_b64 vcc, exec, s[4:5]
	s_cbranch_vccz .LBB18_1482
; %bb.1481:
	global_load_ubyte v1, v[8:9], off
	s_mov_b32 s4, 0x7f800000
	s_waitcnt vmcnt(0)
	v_lshlrev_b32_e32 v1, 24, v1
	v_and_b32_e32 v10, 0x7f000000, v1
	v_ffbh_u32_e32 v11, v10
	v_min_u32_e32 v11, 32, v11
	v_sub_u32_e64 v11, v11, 4 clamp
	v_lshlrev_b32_e32 v13, v11, v10
	v_lshlrev_b32_e32 v11, 23, v11
	v_lshrrev_b32_e32 v13, 4, v13
	v_add_u32_e32 v12, 0x1000000, v10
	v_sub_u32_e32 v11, v13, v11
	v_ashrrev_i32_e32 v12, 8, v12
	v_add_u32_e32 v11, 0x3c000000, v11
	v_and_or_b32 v11, v12, s4, v11
	v_cmp_ne_u32_e32 vcc, 0, v10
	v_cndmask_b32_e32 v10, 0, v11, vcc
	s_brev_b32 s4, 1
	v_and_or_b32 v10, v1, s4, v10
.LBB18_1482:
	s_mov_b64 s[4:5], 0
.LBB18_1483:
	s_andn2_b64 vcc, exec, s[4:5]
	s_cbranch_vccnz .LBB18_1485
; %bb.1484:
	global_load_ubyte v1, v[8:9], off
	s_movk_i32 s4, 0x7f00
	s_brev_b32 s5, 16
	s_waitcnt vmcnt(0)
	v_lshlrev_b16_e32 v10, 8, v1
	v_lshlrev_b32_e32 v1, 25, v1
	v_lshrrev_b32_e32 v11, 4, v1
	v_and_or_b32 v12, v10, s4, 0.5
	v_or_b32_e32 v11, 0x70000000, v11
	v_add_f32_e32 v12, -0.5, v12
	v_mul_f32_e32 v11, 0x7800000, v11
	v_cmp_gt_u32_e32 vcc, s5, v1
	v_bfe_i32 v10, v10, 0, 16
	v_cndmask_b32_e32 v1, v11, v12, vcc
	s_brev_b32 s4, 1
	v_and_or_b32 v10, v10, s4, v1
.LBB18_1485:
	s_mov_b64 s[4:5], 0
	s_mov_b64 s[6:7], -1
.LBB18_1486:
	s_andn2_b64 vcc, exec, s[4:5]
	s_mov_b64 s[4:5], 0
	s_cbranch_vccnz .LBB18_1497
; %bb.1487:
	s_cmp_gt_i32 s18, 14
	s_cbranch_scc0 .LBB18_1490
; %bb.1488:
	s_cmp_eq_u32 s18, 15
	s_cbranch_scc0 .LBB18_1493
; %bb.1489:
	global_load_ushort v1, v[8:9], off
	s_mov_b64 s[0:1], 0
	s_mov_b64 s[6:7], -1
	s_waitcnt vmcnt(0)
	v_lshlrev_b32_e32 v10, 16, v1
	s_branch .LBB18_1494
.LBB18_1490:
	s_mov_b64 s[12:13], -1
                                        ; implicit-def: $vgpr10
	s_branch .LBB18_1495
.LBB18_1491:
	s_or_saveexec_b64 s[6:7], s[6:7]
	v_mov_b32_e32 v10, 0x7f800001
	s_xor_b64 exec, exec, s[6:7]
	s_cbranch_execz .LBB18_1472
.LBB18_1492:
	v_cmp_ne_u16_e32 vcc, 0, v1
	s_andn2_b64 s[4:5], s[4:5], exec
	s_and_b64 s[12:13], vcc, exec
	v_mov_b32_e32 v10, 0
	s_or_b64 s[4:5], s[4:5], s[12:13]
	s_or_b64 exec, exec, s[6:7]
	s_and_saveexec_b64 s[6:7], s[4:5]
	s_cbranch_execnz .LBB18_1473
	s_branch .LBB18_1474
.LBB18_1493:
	s_mov_b64 s[0:1], -1
                                        ; implicit-def: $vgpr10
.LBB18_1494:
	s_mov_b64 s[12:13], 0
.LBB18_1495:
	s_and_b64 vcc, exec, s[12:13]
	s_cbranch_vccz .LBB18_1497
; %bb.1496:
	s_cmp_lg_u32 s18, 11
	s_mov_b64 s[4:5], -1
	s_cselect_b64 s[0:1], -1, 0
.LBB18_1497:
	s_and_b64 vcc, exec, s[0:1]
	s_cbranch_vccnz .LBB18_1564
; %bb.1498:
	s_andn2_b64 vcc, exec, s[4:5]
	s_cbranch_vccnz .LBB18_1500
.LBB18_1499:
	global_load_ubyte v1, v[8:9], off
	s_mov_b64 s[6:7], -1
	s_waitcnt vmcnt(0)
	v_cmp_ne_u16_e32 vcc, 0, v1
	v_cndmask_b32_e64 v10, 0, 1.0, vcc
.LBB18_1500:
	s_branch .LBB18_1428
.LBB18_1501:
	s_and_b32 s4, 0xffff, s17
	s_cmp_lt_i32 s4, 5
	s_cbranch_scc1 .LBB18_1506
; %bb.1502:
	s_cmp_lt_i32 s4, 8
	s_cbranch_scc1 .LBB18_1507
; %bb.1503:
	;; [unrolled: 3-line block ×3, first 2 shown]
	s_cmp_gt_i32 s4, 9
	s_cbranch_scc0 .LBB18_1509
; %bb.1505:
	global_load_dwordx2 v[10:11], v[8:9], off
	s_mov_b64 s[0:1], 0
	s_waitcnt vmcnt(0)
	v_cvt_f32_f64_e32 v10, v[10:11]
	s_branch .LBB18_1510
.LBB18_1506:
	s_mov_b64 s[0:1], -1
                                        ; implicit-def: $vgpr10
	s_branch .LBB18_1528
.LBB18_1507:
	s_mov_b64 s[0:1], -1
                                        ; implicit-def: $vgpr10
	s_branch .LBB18_1516
.LBB18_1508:
	s_mov_b64 s[0:1], -1
                                        ; implicit-def: $vgpr10
	s_branch .LBB18_1513
.LBB18_1509:
	s_mov_b64 s[0:1], -1
                                        ; implicit-def: $vgpr10
.LBB18_1510:
	s_andn2_b64 vcc, exec, s[0:1]
	s_cbranch_vccnz .LBB18_1512
; %bb.1511:
	global_load_dword v10, v[8:9], off
.LBB18_1512:
	s_mov_b64 s[0:1], 0
.LBB18_1513:
	s_andn2_b64 vcc, exec, s[0:1]
	s_cbranch_vccnz .LBB18_1515
; %bb.1514:
	global_load_dword v1, v[8:9], off
	s_waitcnt vmcnt(0)
	v_cvt_f32_f16_e32 v10, v1
.LBB18_1515:
	s_mov_b64 s[0:1], 0
.LBB18_1516:
	s_andn2_b64 vcc, exec, s[0:1]
	s_cbranch_vccnz .LBB18_1527
; %bb.1517:
	s_cmp_lt_i32 s4, 6
	s_cbranch_scc1 .LBB18_1520
; %bb.1518:
	s_cmp_gt_i32 s4, 6
	s_cbranch_scc0 .LBB18_1521
; %bb.1519:
	global_load_dwordx2 v[10:11], v[8:9], off
	s_mov_b64 s[0:1], 0
	s_waitcnt vmcnt(0)
	v_cvt_f32_f64_e32 v10, v[10:11]
	s_branch .LBB18_1522
.LBB18_1520:
	s_mov_b64 s[0:1], -1
                                        ; implicit-def: $vgpr10
	s_branch .LBB18_1525
.LBB18_1521:
	s_mov_b64 s[0:1], -1
                                        ; implicit-def: $vgpr10
.LBB18_1522:
	s_andn2_b64 vcc, exec, s[0:1]
	s_cbranch_vccnz .LBB18_1524
; %bb.1523:
	global_load_dword v10, v[8:9], off
.LBB18_1524:
	s_mov_b64 s[0:1], 0
.LBB18_1525:
	s_andn2_b64 vcc, exec, s[0:1]
	s_cbranch_vccnz .LBB18_1527
; %bb.1526:
	global_load_ushort v1, v[8:9], off
	s_waitcnt vmcnt(0)
	v_cvt_f32_f16_e32 v10, v1
.LBB18_1527:
	s_mov_b64 s[0:1], 0
.LBB18_1528:
	s_andn2_b64 vcc, exec, s[0:1]
	s_cbranch_vccnz .LBB18_1548
; %bb.1529:
	s_cmp_lt_i32 s4, 2
	s_cbranch_scc1 .LBB18_1533
; %bb.1530:
	s_cmp_lt_i32 s4, 3
	s_cbranch_scc1 .LBB18_1534
; %bb.1531:
	s_cmp_gt_i32 s4, 3
	s_cbranch_scc0 .LBB18_1535
; %bb.1532:
	global_load_dwordx2 v[10:11], v[8:9], off
	s_mov_b64 s[0:1], 0
	s_waitcnt vmcnt(0)
	v_xor_b32_e32 v12, v10, v11
	v_ffbh_i32_e32 v1, v11
	v_ashrrev_i32_e32 v12, 31, v12
	v_add_u32_e32 v1, -1, v1
	v_add_u32_e32 v12, 32, v12
	v_min_u32_e32 v1, v1, v12
	v_lshlrev_b64 v[10:11], v1, v[10:11]
	v_sub_u32_e32 v1, 32, v1
	v_min_u32_e32 v10, 1, v10
	v_or_b32_e32 v10, v11, v10
	v_cvt_f32_i32_e32 v10, v10
	v_ldexp_f32 v10, v10, v1
	s_branch .LBB18_1536
.LBB18_1533:
	s_mov_b64 s[0:1], -1
                                        ; implicit-def: $vgpr10
	s_branch .LBB18_1542
.LBB18_1534:
	s_mov_b64 s[0:1], -1
                                        ; implicit-def: $vgpr10
	s_branch .LBB18_1539
.LBB18_1535:
	s_mov_b64 s[0:1], -1
                                        ; implicit-def: $vgpr10
.LBB18_1536:
	s_andn2_b64 vcc, exec, s[0:1]
	s_cbranch_vccnz .LBB18_1538
; %bb.1537:
	global_load_dword v1, v[8:9], off
	s_waitcnt vmcnt(0)
	v_cvt_f32_i32_e32 v10, v1
.LBB18_1538:
	s_mov_b64 s[0:1], 0
.LBB18_1539:
	s_andn2_b64 vcc, exec, s[0:1]
	s_cbranch_vccnz .LBB18_1541
; %bb.1540:
	global_load_sshort v1, v[8:9], off
	s_waitcnt vmcnt(0)
	v_cvt_f32_i32_e32 v10, v1
.LBB18_1541:
	s_mov_b64 s[0:1], 0
.LBB18_1542:
	s_andn2_b64 vcc, exec, s[0:1]
	s_cbranch_vccnz .LBB18_1548
; %bb.1543:
	s_cmp_gt_i32 s4, 0
	s_cbranch_scc0 .LBB18_1545
; %bb.1544:
	global_load_sbyte v1, v[8:9], off
	s_mov_b64 s[0:1], 0
	s_waitcnt vmcnt(0)
	v_cvt_f32_i32_e32 v10, v1
	s_branch .LBB18_1546
.LBB18_1545:
	s_mov_b64 s[0:1], -1
                                        ; implicit-def: $vgpr10
.LBB18_1546:
	s_andn2_b64 vcc, exec, s[0:1]
	s_cbranch_vccnz .LBB18_1548
; %bb.1547:
	global_load_ubyte v1, v[8:9], off
	s_waitcnt vmcnt(0)
	v_cvt_f32_ubyte0_e32 v10, v1
.LBB18_1548:
.LBB18_1549:
	s_mov_b32 s0, 0x41000000
	s_waitcnt vmcnt(0)
	v_cmp_le_f32_e64 s[0:1], |v10|, s0
                                        ; implicit-def: $vgpr1
	s_and_saveexec_b64 s[4:5], s[0:1]
	s_xor_b64 s[0:1], exec, s[4:5]
	s_cbranch_execz .LBB18_1551
; %bb.1550:
	v_fma_f32 v1, |v10|, 0.5, -2.0
	v_mov_b32_e32 v8, 0x24199b15
	v_fmac_f32_e32 v8, 0xa2a2e5b9, v1
	v_mov_b32_e32 v9, 0x22a2e5b9
	v_fmac_f32_e32 v9, v1, v8
	v_add_f32_e32 v9, 0xa58c275c, v9
	v_fma_f32 v8, v1, v9, -v8
	v_add_f32_e32 v8, 0x26f736c5, v8
	v_fma_f32 v9, v1, v8, -v9
	;; [unrolled: 2-line block ×22, first 2 shown]
	v_add_f32_e32 v9, 0xbcc274f8, v9
	s_mov_b32 s4, 0x3fb8aa3b
	v_fma_f32 v8, v1, v9, -v8
	v_mul_f32_e64 v11, |v10|, s4
	v_add_f32_e32 v8, 0x3d49f456, v8
	v_rndne_f32_e32 v12, v11
	v_fma_f32 v9, v1, v8, -v9
	v_sub_f32_e32 v13, v11, v12
	v_fma_f32 v11, |v10|, s4, -v11
	s_mov_b32 s4, 0x32a5705f
	v_add_f32_e32 v9, 0xbdc25b82, v9
	v_fma_f32 v11, |v10|, s4, v11
	v_fma_f32 v8, v1, v9, -v8
	v_add_f32_e32 v11, v13, v11
	v_add_f32_e32 v8, 0x3e2fbd64, v8
	v_exp_f32_e32 v11, v11
	v_cvt_i32_f32_e32 v12, v12
	v_fma_f32 v9, v1, v8, -v9
	v_add_f32_e32 v9, 0xbe9bff5e, v9
	v_fma_f32 v1, v1, v9, -v8
	s_mov_b32 s4, 0xc2ce8ed0
	v_add_f32_e32 v1, 0x3f2d4275, v1
	v_ldexp_f32 v9, v11, v12
	v_cmp_nlt_f32_e64 vcc, |v10|, s4
	s_mov_b32 s4, 0x42b17218
	v_cndmask_b32_e32 v9, 0, v9, vcc
	v_mov_b32_e32 v11, 0x7f800000
	v_cmp_ngt_f32_e64 vcc, |v10|, s4
	v_sub_f32_e32 v1, v1, v8
	v_cndmask_b32_e32 v9, v11, v9, vcc
	v_mul_f32_e32 v1, 0.5, v1
	v_mul_f32_e32 v1, v9, v1
                                        ; implicit-def: $vgpr10
.LBB18_1551:
	s_andn2_saveexec_b64 s[4:5], s[0:1]
	s_cbranch_execz .LBB18_1553
; %bb.1552:
	v_and_b32_e32 v1, 0x7fffffff, v10
	s_mov_b32 s6, 0x42000000
	v_div_scale_f32 v8, s[0:1], v1, v1, s6
	v_div_scale_f32 v1, vcc, s6, v1, s6
	s_mov_b32 s0, 0x3fb8aa3b
	v_mul_f32_e64 v12, |v10|, s0
	s_mov_b32 s1, 0x32a5705f
	v_rndne_f32_e32 v15, v12
	v_fma_f32 v16, |v10|, s0, -v12
	s_mov_b32 s13, 0xf800000
	s_mov_b32 s14, 0x4f800000
	v_sub_f32_e32 v12, v12, v15
	v_mul_f32_e64 v14, |v10|, s14
	v_mov_b32_e32 v9, 0xa2b236d3
	v_mov_b32_e32 v11, 0x23056dbb
	s_mov_b32 s7, 0xc2ce8ed0
	v_rcp_f32_e32 v13, v8
	s_mov_b32 s12, 0x42b17218
	v_fma_f32 v17, -v8, v13, 1.0
	v_fmac_f32_e32 v13, v17, v13
	v_mul_f32_e32 v17, v1, v13
	v_fma_f32 v18, -v8, v17, v1
	v_fmac_f32_e32 v17, v18, v13
	v_fma_f32 v1, -v8, v17, v1
	v_div_fmas_f32 v1, v1, v13, v17
	v_fma_f32 v13, |v10|, s1, v16
	v_cmp_lt_f32_e64 vcc, |v10|, s13
	v_add_f32_e32 v12, v12, v13
	v_cndmask_b32_e64 v8, |v10|, v14, vcc
	v_cvt_i32_f32_e32 v14, v15
	v_exp_f32_e32 v12, v12
	v_cmp_nlt_f32_e64 s[0:1], |v10|, s7
	v_sqrt_f32_e32 v15, v8
	v_mov_b32_e32 v13, 0x7f800000
	v_ldexp_f32 v12, v12, v14
	v_cndmask_b32_e64 v12, 0, v12, s[0:1]
	v_cmp_ngt_f32_e64 s[0:1], |v10|, s12
	v_add_u32_e32 v16, -1, v15
	v_fma_f32 v17, -v16, v15, v8
	v_cndmask_b32_e64 v12, v13, v12, s[0:1]
	v_div_fixup_f32 v1, v1, |v10|, s6
	v_add_f32_e32 v1, -2.0, v1
	v_fmac_f32_e32 v9, 0xa3056dbb, v1
	v_fmac_f32_e32 v11, v1, v9
	v_add_f32_e32 v10, 0x244df0c1, v11
	v_fma_f32 v9, v1, v10, -v9
	v_add_f32_e32 v9, 0x241f9ee8, v9
	v_fma_f32 v10, v1, v9, -v10
	;; [unrolled: 2-line block ×22, first 2 shown]
	v_add_f32_e32 v1, 0x3f4df315, v1
	v_sub_f32_e32 v1, v1, v10
	v_add_u32_e32 v10, 1, v15
	v_cmp_ge_f32_e64 s[0:1], 0, v17
	v_fma_f32 v11, -v10, v15, v8
	v_cndmask_b32_e64 v9, v15, v16, s[0:1]
	v_cmp_lt_f32_e64 s[0:1], 0, v11
	v_cndmask_b32_e64 v9, v9, v10, s[0:1]
	v_mul_f32_e32 v10, 0x37800000, v9
	v_cndmask_b32_e32 v9, v9, v10, vcc
	v_mov_b32_e32 v10, 0x260
	v_mul_f32_e32 v1, 0.5, v1
	v_cmp_class_f32_e32 vcc, v8, v10
	v_mul_f32_e32 v1, v12, v1
	v_cndmask_b32_e32 v8, v9, v8, vcc
	v_div_scale_f32 v9, s[0:1], v8, v8, v1
	v_div_scale_f32 v10, vcc, v1, v8, v1
	v_rcp_f32_e32 v11, v9
	v_fma_f32 v12, -v9, v11, 1.0
	v_fmac_f32_e32 v11, v12, v11
	v_mul_f32_e32 v12, v10, v11
	v_fma_f32 v13, -v9, v12, v10
	v_fmac_f32_e32 v12, v13, v11
	v_fma_f32 v9, -v9, v12, v10
	v_div_fmas_f32 v9, v9, v11, v12
	v_div_fixup_f32 v1, v9, v8, v1
.LBB18_1553:
	s_or_b64 exec, exec, s[4:5]
	v_mov_b32_e32 v8, s11
	v_add_co_u32_e32 v7, vcc, s10, v7
	s_cmp_lt_i32 s17, 11
	v_addc_co_u32_e32 v8, vcc, 0, v8, vcc
	s_cbranch_scc1 .LBB18_1560
; %bb.1554:
	s_and_b32 s14, 0xffff, s17
	s_cmp_gt_i32 s14, 25
	s_mov_b64 s[4:5], 0
	s_cbranch_scc0 .LBB18_1561
; %bb.1555:
	s_cmp_gt_i32 s14, 28
	s_cbranch_scc0 .LBB18_1562
; %bb.1556:
	s_cmp_gt_i32 s14, 43
	;; [unrolled: 3-line block ×3, first 2 shown]
	s_cbranch_scc0 .LBB18_1565
; %bb.1558:
	s_cmp_eq_u32 s14, 46
	s_mov_b64 s[10:11], 0
	s_cbranch_scc0 .LBB18_1566
; %bb.1559:
	global_load_dword v9, v[7:8], off
	s_mov_b64 s[0:1], 0
	s_mov_b64 s[6:7], -1
	s_waitcnt vmcnt(0)
	v_lshlrev_b32_e32 v9, 16, v9
	s_branch .LBB18_1567
.LBB18_1560:
	s_mov_b64 s[0:1], -1
	s_mov_b64 s[6:7], 0
                                        ; implicit-def: $vgpr9
	s_branch .LBB18_1633
.LBB18_1561:
	s_mov_b64 s[10:11], -1
	s_mov_b64 s[6:7], 0
	s_mov_b64 s[0:1], 0
                                        ; implicit-def: $vgpr9
	s_branch .LBB18_1596
.LBB18_1562:
	s_mov_b64 s[10:11], -1
	s_mov_b64 s[6:7], 0
	s_mov_b64 s[0:1], 0
                                        ; implicit-def: $vgpr9
	s_branch .LBB18_1577
.LBB18_1563:
	s_mov_b64 s[10:11], -1
	s_mov_b64 s[6:7], 0
	s_mov_b64 s[0:1], 0
                                        ; implicit-def: $vgpr9
	s_branch .LBB18_1572
.LBB18_1564:
	s_trap 2
	s_or_b64 s[2:3], s[2:3], exec
	s_cbranch_execz .LBB18_1499
	s_branch .LBB18_1500
.LBB18_1565:
	s_mov_b64 s[10:11], -1
	s_mov_b64 s[6:7], 0
	s_mov_b64 s[0:1], 0
                                        ; implicit-def: $vgpr9
	s_branch .LBB18_1567
.LBB18_1566:
	s_mov_b64 s[0:1], -1
                                        ; implicit-def: $vgpr9
	s_mov_b64 s[6:7], 0
.LBB18_1567:
	s_and_b64 vcc, exec, s[10:11]
	s_cbranch_vccz .LBB18_1571
; %bb.1568:
	s_cmp_eq_u32 s14, 44
	s_cbranch_scc0 .LBB18_1570
; %bb.1569:
	global_load_ubyte v9, v[7:8], off
	s_movk_i32 s6, 0xff
	v_mov_b32_e32 v10, 0x7f800001
	v_mov_b32_e32 v11, 0x400000
	s_mov_b64 s[0:1], 0
	s_waitcnt vmcnt(0)
	v_lshlrev_b32_e32 v12, 23, v9
	v_cmp_ne_u32_e32 vcc, s6, v9
	v_cndmask_b32_e32 v10, v10, v12, vcc
	v_cmp_ne_u32_e32 vcc, 0, v9
	v_cndmask_b32_e32 v9, v11, v10, vcc
	s_mov_b64 s[6:7], -1
	s_branch .LBB18_1571
.LBB18_1570:
	s_mov_b64 s[0:1], -1
                                        ; implicit-def: $vgpr9
.LBB18_1571:
	s_mov_b64 s[10:11], 0
.LBB18_1572:
	s_and_b64 vcc, exec, s[10:11]
	s_cbranch_vccz .LBB18_1576
; %bb.1573:
	s_cmp_eq_u32 s14, 29
	s_cbranch_scc0 .LBB18_1575
; %bb.1574:
	global_load_dwordx2 v[9:10], v[7:8], off
	s_mov_b64 s[0:1], 0
	s_mov_b64 s[6:7], -1
	s_mov_b64 s[10:11], 0
	s_waitcnt vmcnt(0)
	v_ffbh_u32_e32 v11, v10
	v_min_u32_e32 v11, 32, v11
	v_lshlrev_b64 v[9:10], v11, v[9:10]
	v_min_u32_e32 v9, 1, v9
	v_or_b32_e32 v9, v10, v9
	v_cvt_f32_u32_e32 v9, v9
	v_sub_u32_e32 v10, 32, v11
	v_ldexp_f32 v9, v9, v10
	s_branch .LBB18_1577
.LBB18_1575:
	s_mov_b64 s[0:1], -1
                                        ; implicit-def: $vgpr9
.LBB18_1576:
	s_mov_b64 s[10:11], 0
.LBB18_1577:
	s_and_b64 vcc, exec, s[10:11]
	s_cbranch_vccz .LBB18_1595
; %bb.1578:
	s_cmp_lt_i32 s14, 27
	s_cbranch_scc1 .LBB18_1581
; %bb.1579:
	s_cmp_gt_i32 s14, 27
	s_cbranch_scc0 .LBB18_1582
; %bb.1580:
	global_load_dword v9, v[7:8], off
	s_mov_b64 s[6:7], 0
	s_waitcnt vmcnt(0)
	v_cvt_f32_u32_e32 v9, v9
	s_branch .LBB18_1583
.LBB18_1581:
	s_mov_b64 s[6:7], -1
                                        ; implicit-def: $vgpr9
	s_branch .LBB18_1586
.LBB18_1582:
	s_mov_b64 s[6:7], -1
                                        ; implicit-def: $vgpr9
.LBB18_1583:
	s_andn2_b64 vcc, exec, s[6:7]
	s_cbranch_vccnz .LBB18_1585
; %bb.1584:
	global_load_ushort v9, v[7:8], off
	s_waitcnt vmcnt(0)
	v_cvt_f32_u32_e32 v9, v9
.LBB18_1585:
	s_mov_b64 s[6:7], 0
.LBB18_1586:
	s_andn2_b64 vcc, exec, s[6:7]
	s_cbranch_vccnz .LBB18_1594
; %bb.1587:
	global_load_ubyte v10, v[7:8], off
	s_movk_i32 s6, 0x7f
	s_waitcnt vmcnt(0)
	v_cmp_lt_i16_e32 vcc, s6, v10
	s_mov_b64 s[6:7], 0
	s_and_saveexec_b64 s[10:11], vcc
	s_xor_b64 s[10:11], exec, s[10:11]
	s_cbranch_execz .LBB18_1608
; %bb.1588:
	s_movk_i32 s6, 0x80
	v_cmp_eq_u16_e32 vcc, s6, v10
	s_mov_b64 s[6:7], -1
	s_and_saveexec_b64 s[12:13], vcc
; %bb.1589:
	s_xor_b64 s[6:7], exec, -1
; %bb.1590:
	s_or_b64 exec, exec, s[12:13]
	s_and_b64 s[6:7], s[6:7], exec
	s_or_saveexec_b64 s[10:11], s[10:11]
	v_mov_b32_e32 v9, 0x7f800001
	s_xor_b64 exec, exec, s[10:11]
	s_cbranch_execnz .LBB18_1609
.LBB18_1591:
	s_or_b64 exec, exec, s[10:11]
	s_and_saveexec_b64 s[10:11], s[6:7]
	s_cbranch_execz .LBB18_1593
.LBB18_1592:
	v_lshlrev_b32_e32 v9, 24, v10
	v_and_b32_e32 v10, 0xffff, v10
	v_and_b32_e32 v11, 7, v10
	v_ffbh_u32_e32 v13, v11
	v_min_u32_e32 v13, 32, v13
	v_subrev_u32_e32 v14, 28, v13
	v_bfe_u32 v12, v10, 3, 4
	v_lshlrev_b32_e32 v10, v14, v10
	v_sub_u32_e32 v13, 29, v13
	v_and_b32_e32 v10, 7, v10
	v_cmp_eq_u32_e32 vcc, 0, v12
	v_cndmask_b32_e32 v12, v12, v13, vcc
	v_cndmask_b32_e32 v10, v11, v10, vcc
	v_mov_b32_e32 v11, 0x3b800000
	v_lshlrev_b32_e32 v10, 20, v10
	v_and_b32_e32 v9, 0x80000000, v9
	v_lshl_add_u32 v11, v12, 23, v11
	v_or3_b32 v9, v9, v11, v10
.LBB18_1593:
	s_or_b64 exec, exec, s[10:11]
.LBB18_1594:
	s_mov_b64 s[6:7], -1
.LBB18_1595:
	s_mov_b64 s[10:11], 0
.LBB18_1596:
	s_and_b64 vcc, exec, s[10:11]
	s_cbranch_vccz .LBB18_1629
; %bb.1597:
	s_cmp_gt_i32 s14, 22
	s_cbranch_scc0 .LBB18_1607
; %bb.1598:
	s_cmp_lt_i32 s14, 24
	s_cbranch_scc1 .LBB18_1610
; %bb.1599:
	s_cmp_gt_i32 s14, 24
	s_cbranch_scc0 .LBB18_1611
; %bb.1600:
	global_load_ubyte v10, v[7:8], off
	s_movk_i32 s4, 0x7f
	s_waitcnt vmcnt(0)
	v_cmp_lt_i16_e32 vcc, s4, v10
	s_mov_b64 s[4:5], 0
	s_and_saveexec_b64 s[6:7], vcc
	s_xor_b64 s[6:7], exec, s[6:7]
	s_cbranch_execz .LBB18_1623
; %bb.1601:
	s_movk_i32 s4, 0x80
	v_cmp_eq_u16_e32 vcc, s4, v10
	s_mov_b64 s[4:5], -1
	s_and_saveexec_b64 s[10:11], vcc
; %bb.1602:
	s_xor_b64 s[4:5], exec, -1
; %bb.1603:
	s_or_b64 exec, exec, s[10:11]
	s_and_b64 s[4:5], s[4:5], exec
	s_or_saveexec_b64 s[6:7], s[6:7]
	v_mov_b32_e32 v9, 0x7f800001
	s_xor_b64 exec, exec, s[6:7]
	s_cbranch_execnz .LBB18_1624
.LBB18_1604:
	s_or_b64 exec, exec, s[6:7]
	s_and_saveexec_b64 s[6:7], s[4:5]
	s_cbranch_execz .LBB18_1606
.LBB18_1605:
	v_lshlrev_b32_e32 v9, 24, v10
	v_and_b32_e32 v10, 0xffff, v10
	v_and_b32_e32 v11, 3, v10
	v_ffbh_u32_e32 v13, v11
	v_min_u32_e32 v13, 32, v13
	v_subrev_u32_e32 v14, 29, v13
	v_bfe_u32 v12, v10, 2, 5
	v_lshlrev_b32_e32 v10, v14, v10
	v_sub_u32_e32 v13, 30, v13
	v_and_b32_e32 v10, 3, v10
	v_cmp_eq_u32_e32 vcc, 0, v12
	v_cndmask_b32_e32 v12, v12, v13, vcc
	v_cndmask_b32_e32 v10, v11, v10, vcc
	v_mov_b32_e32 v11, 0x37800000
	v_lshlrev_b32_e32 v10, 21, v10
	v_and_b32_e32 v9, 0x80000000, v9
	v_lshl_add_u32 v11, v12, 23, v11
	v_or3_b32 v9, v9, v11, v10
.LBB18_1606:
	s_or_b64 exec, exec, s[6:7]
	s_mov_b64 s[4:5], 0
	s_branch .LBB18_1612
.LBB18_1607:
	s_mov_b64 s[4:5], -1
                                        ; implicit-def: $vgpr9
	s_branch .LBB18_1618
.LBB18_1608:
	s_or_saveexec_b64 s[10:11], s[10:11]
	v_mov_b32_e32 v9, 0x7f800001
	s_xor_b64 exec, exec, s[10:11]
	s_cbranch_execz .LBB18_1591
.LBB18_1609:
	v_cmp_ne_u16_e32 vcc, 0, v10
	s_andn2_b64 s[6:7], s[6:7], exec
	s_and_b64 s[12:13], vcc, exec
	v_mov_b32_e32 v9, 0
	s_or_b64 s[6:7], s[6:7], s[12:13]
	s_or_b64 exec, exec, s[10:11]
	s_and_saveexec_b64 s[10:11], s[6:7]
	s_cbranch_execnz .LBB18_1592
	s_branch .LBB18_1593
.LBB18_1610:
	s_mov_b64 s[4:5], -1
                                        ; implicit-def: $vgpr9
	s_branch .LBB18_1615
.LBB18_1611:
	s_mov_b64 s[4:5], -1
                                        ; implicit-def: $vgpr9
.LBB18_1612:
	s_and_b64 vcc, exec, s[4:5]
	s_cbranch_vccz .LBB18_1614
; %bb.1613:
	global_load_ubyte v9, v[7:8], off
	s_mov_b32 s4, 0x7f800000
	s_waitcnt vmcnt(0)
	v_lshlrev_b32_e32 v9, 24, v9
	v_and_b32_e32 v10, 0x7f000000, v9
	v_ffbh_u32_e32 v11, v10
	v_min_u32_e32 v11, 32, v11
	v_sub_u32_e64 v11, v11, 4 clamp
	v_lshlrev_b32_e32 v13, v11, v10
	v_lshlrev_b32_e32 v11, 23, v11
	v_lshrrev_b32_e32 v13, 4, v13
	v_add_u32_e32 v12, 0x1000000, v10
	v_sub_u32_e32 v11, v13, v11
	v_ashrrev_i32_e32 v12, 8, v12
	v_add_u32_e32 v11, 0x3c000000, v11
	v_and_or_b32 v11, v12, s4, v11
	v_cmp_ne_u32_e32 vcc, 0, v10
	v_cndmask_b32_e32 v10, 0, v11, vcc
	s_brev_b32 s4, 1
	v_and_or_b32 v9, v9, s4, v10
.LBB18_1614:
	s_mov_b64 s[4:5], 0
.LBB18_1615:
	s_andn2_b64 vcc, exec, s[4:5]
	s_cbranch_vccnz .LBB18_1617
; %bb.1616:
	global_load_ubyte v9, v[7:8], off
	s_movk_i32 s4, 0x7f00
	s_brev_b32 s5, 16
	s_waitcnt vmcnt(0)
	v_lshlrev_b16_e32 v10, 8, v9
	v_lshlrev_b32_e32 v9, 25, v9
	v_lshrrev_b32_e32 v11, 4, v9
	v_and_or_b32 v12, v10, s4, 0.5
	v_or_b32_e32 v11, 0x70000000, v11
	v_add_f32_e32 v12, -0.5, v12
	v_mul_f32_e32 v11, 0x7800000, v11
	v_cmp_gt_u32_e32 vcc, s5, v9
	v_bfe_i32 v10, v10, 0, 16
	v_cndmask_b32_e32 v9, v11, v12, vcc
	s_brev_b32 s4, 1
	v_and_or_b32 v9, v10, s4, v9
.LBB18_1617:
	s_mov_b64 s[4:5], 0
	s_mov_b64 s[6:7], -1
.LBB18_1618:
	s_andn2_b64 vcc, exec, s[4:5]
	s_mov_b64 s[4:5], 0
	s_cbranch_vccnz .LBB18_1629
; %bb.1619:
	s_cmp_gt_i32 s14, 14
	s_cbranch_scc0 .LBB18_1622
; %bb.1620:
	s_cmp_eq_u32 s14, 15
	s_cbranch_scc0 .LBB18_1625
; %bb.1621:
	global_load_ushort v9, v[7:8], off
	s_mov_b64 s[0:1], 0
	s_mov_b64 s[6:7], -1
	s_waitcnt vmcnt(0)
	v_lshlrev_b32_e32 v9, 16, v9
	s_branch .LBB18_1626
.LBB18_1622:
	s_mov_b64 s[10:11], -1
                                        ; implicit-def: $vgpr9
	s_branch .LBB18_1627
.LBB18_1623:
	s_or_saveexec_b64 s[6:7], s[6:7]
	v_mov_b32_e32 v9, 0x7f800001
	s_xor_b64 exec, exec, s[6:7]
	s_cbranch_execz .LBB18_1604
.LBB18_1624:
	v_cmp_ne_u16_e32 vcc, 0, v10
	s_andn2_b64 s[4:5], s[4:5], exec
	s_and_b64 s[10:11], vcc, exec
	v_mov_b32_e32 v9, 0
	s_or_b64 s[4:5], s[4:5], s[10:11]
	s_or_b64 exec, exec, s[6:7]
	s_and_saveexec_b64 s[6:7], s[4:5]
	s_cbranch_execnz .LBB18_1605
	s_branch .LBB18_1606
.LBB18_1625:
	s_mov_b64 s[0:1], -1
                                        ; implicit-def: $vgpr9
.LBB18_1626:
	s_mov_b64 s[10:11], 0
.LBB18_1627:
	s_and_b64 vcc, exec, s[10:11]
	s_cbranch_vccz .LBB18_1629
; %bb.1628:
	s_cmp_lg_u32 s14, 11
	s_mov_b64 s[4:5], -1
	s_cselect_b64 s[0:1], -1, 0
.LBB18_1629:
	s_and_b64 vcc, exec, s[0:1]
	s_cbranch_vccnz .LBB18_2168
; %bb.1630:
	s_andn2_b64 vcc, exec, s[4:5]
	s_cbranch_vccnz .LBB18_1632
.LBB18_1631:
	global_load_ubyte v9, v[7:8], off
	s_mov_b64 s[6:7], -1
	s_waitcnt vmcnt(0)
	v_cmp_ne_u16_e32 vcc, 0, v9
	v_cndmask_b32_e64 v9, 0, 1.0, vcc
.LBB18_1632:
	s_mov_b64 s[0:1], 0
.LBB18_1633:
	s_and_b64 vcc, exec, s[0:1]
	s_cbranch_vccz .LBB18_1682
; %bb.1634:
	s_and_b32 s4, 0xffff, s17
	s_cmp_lt_i32 s4, 5
	s_cbranch_scc1 .LBB18_1639
; %bb.1635:
	s_cmp_lt_i32 s4, 8
	s_cbranch_scc1 .LBB18_1640
; %bb.1636:
	;; [unrolled: 3-line block ×3, first 2 shown]
	s_cmp_gt_i32 s4, 9
	s_cbranch_scc0 .LBB18_1642
; %bb.1638:
	global_load_dwordx2 v[9:10], v[7:8], off
	s_mov_b64 s[0:1], 0
	s_waitcnt vmcnt(0)
	v_cvt_f32_f64_e32 v9, v[9:10]
	s_branch .LBB18_1643
.LBB18_1639:
	s_mov_b64 s[0:1], -1
                                        ; implicit-def: $vgpr9
	s_branch .LBB18_1661
.LBB18_1640:
	s_mov_b64 s[0:1], -1
                                        ; implicit-def: $vgpr9
	s_branch .LBB18_1649
.LBB18_1641:
	s_mov_b64 s[0:1], -1
                                        ; implicit-def: $vgpr9
	s_branch .LBB18_1646
.LBB18_1642:
	s_mov_b64 s[0:1], -1
                                        ; implicit-def: $vgpr9
.LBB18_1643:
	s_andn2_b64 vcc, exec, s[0:1]
	s_cbranch_vccnz .LBB18_1645
; %bb.1644:
	global_load_dword v9, v[7:8], off
.LBB18_1645:
	s_mov_b64 s[0:1], 0
.LBB18_1646:
	s_andn2_b64 vcc, exec, s[0:1]
	s_cbranch_vccnz .LBB18_1648
; %bb.1647:
	global_load_dword v9, v[7:8], off
	s_waitcnt vmcnt(0)
	v_cvt_f32_f16_e32 v9, v9
.LBB18_1648:
	s_mov_b64 s[0:1], 0
.LBB18_1649:
	s_andn2_b64 vcc, exec, s[0:1]
	s_cbranch_vccnz .LBB18_1660
; %bb.1650:
	s_cmp_lt_i32 s4, 6
	s_cbranch_scc1 .LBB18_1653
; %bb.1651:
	s_cmp_gt_i32 s4, 6
	s_cbranch_scc0 .LBB18_1654
; %bb.1652:
	global_load_dwordx2 v[9:10], v[7:8], off
	s_mov_b64 s[0:1], 0
	s_waitcnt vmcnt(0)
	v_cvt_f32_f64_e32 v9, v[9:10]
	s_branch .LBB18_1655
.LBB18_1653:
	s_mov_b64 s[0:1], -1
                                        ; implicit-def: $vgpr9
	s_branch .LBB18_1658
.LBB18_1654:
	s_mov_b64 s[0:1], -1
                                        ; implicit-def: $vgpr9
.LBB18_1655:
	s_andn2_b64 vcc, exec, s[0:1]
	s_cbranch_vccnz .LBB18_1657
; %bb.1656:
	global_load_dword v9, v[7:8], off
.LBB18_1657:
	s_mov_b64 s[0:1], 0
.LBB18_1658:
	s_andn2_b64 vcc, exec, s[0:1]
	s_cbranch_vccnz .LBB18_1660
; %bb.1659:
	global_load_ushort v9, v[7:8], off
	s_waitcnt vmcnt(0)
	v_cvt_f32_f16_e32 v9, v9
.LBB18_1660:
	s_mov_b64 s[0:1], 0
.LBB18_1661:
	s_andn2_b64 vcc, exec, s[0:1]
	s_cbranch_vccnz .LBB18_1681
; %bb.1662:
	s_cmp_lt_i32 s4, 2
	s_cbranch_scc1 .LBB18_1666
; %bb.1663:
	s_cmp_lt_i32 s4, 3
	s_cbranch_scc1 .LBB18_1667
; %bb.1664:
	s_cmp_gt_i32 s4, 3
	s_cbranch_scc0 .LBB18_1668
; %bb.1665:
	global_load_dwordx2 v[9:10], v[7:8], off
	s_mov_b64 s[0:1], 0
	s_waitcnt vmcnt(0)
	v_xor_b32_e32 v12, v9, v10
	v_ffbh_i32_e32 v11, v10
	v_ashrrev_i32_e32 v12, 31, v12
	v_add_u32_e32 v11, -1, v11
	v_add_u32_e32 v12, 32, v12
	v_min_u32_e32 v11, v11, v12
	v_lshlrev_b64 v[9:10], v11, v[9:10]
	v_min_u32_e32 v9, 1, v9
	v_or_b32_e32 v9, v10, v9
	v_cvt_f32_i32_e32 v9, v9
	v_sub_u32_e32 v10, 32, v11
	v_ldexp_f32 v9, v9, v10
	s_branch .LBB18_1669
.LBB18_1666:
	s_mov_b64 s[0:1], -1
                                        ; implicit-def: $vgpr9
	s_branch .LBB18_1675
.LBB18_1667:
	s_mov_b64 s[0:1], -1
                                        ; implicit-def: $vgpr9
	s_branch .LBB18_1672
.LBB18_1668:
	s_mov_b64 s[0:1], -1
                                        ; implicit-def: $vgpr9
.LBB18_1669:
	s_andn2_b64 vcc, exec, s[0:1]
	s_cbranch_vccnz .LBB18_1671
; %bb.1670:
	global_load_dword v9, v[7:8], off
	s_waitcnt vmcnt(0)
	v_cvt_f32_i32_e32 v9, v9
.LBB18_1671:
	s_mov_b64 s[0:1], 0
.LBB18_1672:
	s_andn2_b64 vcc, exec, s[0:1]
	s_cbranch_vccnz .LBB18_1674
; %bb.1673:
	global_load_sshort v9, v[7:8], off
	s_waitcnt vmcnt(0)
	v_cvt_f32_i32_e32 v9, v9
.LBB18_1674:
	s_mov_b64 s[0:1], 0
.LBB18_1675:
	s_andn2_b64 vcc, exec, s[0:1]
	s_cbranch_vccnz .LBB18_1681
; %bb.1676:
	s_cmp_gt_i32 s4, 0
	s_cbranch_scc0 .LBB18_1678
; %bb.1677:
	global_load_sbyte v9, v[7:8], off
	s_mov_b64 s[0:1], 0
	s_waitcnt vmcnt(0)
	v_cvt_f32_i32_e32 v9, v9
	s_branch .LBB18_1679
.LBB18_1678:
	s_mov_b64 s[0:1], -1
                                        ; implicit-def: $vgpr9
.LBB18_1679:
	s_andn2_b64 vcc, exec, s[0:1]
	s_cbranch_vccnz .LBB18_1681
; %bb.1680:
	global_load_ubyte v7, v[7:8], off
	s_waitcnt vmcnt(0)
	v_cvt_f32_ubyte0_e32 v9, v7
.LBB18_1681:
	s_mov_b64 s[6:7], -1
.LBB18_1682:
	s_andn2_b64 vcc, exec, s[6:7]
	s_cbranch_vccnz .LBB18_1765
; %bb.1683:
	s_mov_b32 s0, 0x41000000
	s_waitcnt vmcnt(0)
	v_cmp_le_f32_e64 s[0:1], |v9|, s0
                                        ; implicit-def: $vgpr7
	s_and_saveexec_b64 s[4:5], s[0:1]
	s_xor_b64 s[0:1], exec, s[4:5]
	s_cbranch_execz .LBB18_1685
; %bb.1684:
	v_fma_f32 v7, |v9|, 0.5, -2.0
	v_mov_b32_e32 v8, 0x24199b15
	v_fmac_f32_e32 v8, 0xa2a2e5b9, v7
	v_mov_b32_e32 v10, 0x22a2e5b9
	v_fmac_f32_e32 v10, v7, v8
	v_add_f32_e32 v10, 0xa58c275c, v10
	v_fma_f32 v8, v7, v10, -v8
	v_add_f32_e32 v8, 0x26f736c5, v8
	v_fma_f32 v10, v7, v8, -v10
	;; [unrolled: 2-line block ×22, first 2 shown]
	v_add_f32_e32 v10, 0xbcc274f8, v10
	s_mov_b32 s4, 0x3fb8aa3b
	v_fma_f32 v8, v7, v10, -v8
	v_mul_f32_e64 v11, |v9|, s4
	v_add_f32_e32 v8, 0x3d49f456, v8
	v_rndne_f32_e32 v12, v11
	v_fma_f32 v10, v7, v8, -v10
	v_sub_f32_e32 v13, v11, v12
	v_fma_f32 v11, |v9|, s4, -v11
	s_mov_b32 s4, 0x32a5705f
	v_add_f32_e32 v10, 0xbdc25b82, v10
	v_fma_f32 v11, |v9|, s4, v11
	v_fma_f32 v8, v7, v10, -v8
	v_add_f32_e32 v11, v13, v11
	v_add_f32_e32 v8, 0x3e2fbd64, v8
	v_exp_f32_e32 v11, v11
	v_cvt_i32_f32_e32 v12, v12
	v_fma_f32 v10, v7, v8, -v10
	v_add_f32_e32 v10, 0xbe9bff5e, v10
	v_fma_f32 v7, v7, v10, -v8
	s_mov_b32 s4, 0xc2ce8ed0
	v_add_f32_e32 v7, 0x3f2d4275, v7
	v_ldexp_f32 v10, v11, v12
	v_cmp_nlt_f32_e64 vcc, |v9|, s4
	s_mov_b32 s4, 0x42b17218
	v_cndmask_b32_e32 v10, 0, v10, vcc
	v_mov_b32_e32 v11, 0x7f800000
	v_cmp_ngt_f32_e64 vcc, |v9|, s4
	v_sub_f32_e32 v7, v7, v8
	v_cndmask_b32_e32 v9, v11, v10, vcc
	v_mul_f32_e32 v7, 0.5, v7
	v_mul_f32_e32 v7, v9, v7
                                        ; implicit-def: $vgpr9
.LBB18_1685:
	s_andn2_saveexec_b64 s[4:5], s[0:1]
	s_cbranch_execz .LBB18_1687
; %bb.1686:
	v_and_b32_e32 v7, 0x7fffffff, v9
	s_mov_b32 s6, 0x42000000
	v_div_scale_f32 v8, s[0:1], v7, v7, s6
	v_div_scale_f32 v7, vcc, s6, v7, s6
	s_mov_b32 s0, 0x3fb8aa3b
	v_mul_f32_e64 v12, |v9|, s0
	s_mov_b32 s1, 0x32a5705f
	v_rndne_f32_e32 v15, v12
	v_fma_f32 v16, |v9|, s0, -v12
	s_mov_b32 s11, 0xf800000
	s_mov_b32 s12, 0x4f800000
	v_sub_f32_e32 v12, v12, v15
	v_mul_f32_e64 v14, |v9|, s12
	v_mov_b32_e32 v10, 0xa2b236d3
	v_mov_b32_e32 v11, 0x23056dbb
	s_mov_b32 s7, 0xc2ce8ed0
	v_rcp_f32_e32 v13, v8
	s_mov_b32 s10, 0x42b17218
	v_fma_f32 v17, -v8, v13, 1.0
	v_fmac_f32_e32 v13, v17, v13
	v_mul_f32_e32 v17, v7, v13
	v_fma_f32 v18, -v8, v17, v7
	v_fmac_f32_e32 v17, v18, v13
	v_fma_f32 v7, -v8, v17, v7
	v_div_fmas_f32 v7, v7, v13, v17
	v_fma_f32 v13, |v9|, s1, v16
	v_cmp_lt_f32_e64 vcc, |v9|, s11
	v_add_f32_e32 v12, v12, v13
	v_cndmask_b32_e64 v8, |v9|, v14, vcc
	v_cvt_i32_f32_e32 v14, v15
	v_exp_f32_e32 v12, v12
	v_cmp_nlt_f32_e64 s[0:1], |v9|, s7
	v_sqrt_f32_e32 v15, v8
	v_mov_b32_e32 v13, 0x7f800000
	v_ldexp_f32 v12, v12, v14
	v_cndmask_b32_e64 v12, 0, v12, s[0:1]
	v_cmp_ngt_f32_e64 s[0:1], |v9|, s10
	v_add_u32_e32 v16, -1, v15
	v_fma_f32 v17, -v16, v15, v8
	v_cndmask_b32_e64 v12, v13, v12, s[0:1]
	v_div_fixup_f32 v7, v7, |v9|, s6
	v_add_f32_e32 v7, -2.0, v7
	v_fmac_f32_e32 v10, 0xa3056dbb, v7
	v_fmac_f32_e32 v11, v7, v10
	v_add_f32_e32 v9, 0x244df0c1, v11
	v_fma_f32 v10, v7, v9, -v10
	v_add_f32_e32 v10, 0x241f9ee8, v10
	v_fma_f32 v9, v7, v10, -v9
	;; [unrolled: 2-line block ×22, first 2 shown]
	v_add_u32_e32 v10, 1, v15
	v_add_f32_e32 v7, 0x3f4df315, v7
	v_cmp_ge_f32_e64 s[0:1], 0, v17
	v_fma_f32 v11, -v10, v15, v8
	v_sub_f32_e32 v7, v7, v9
	v_cndmask_b32_e64 v9, v15, v16, s[0:1]
	v_cmp_lt_f32_e64 s[0:1], 0, v11
	v_cndmask_b32_e64 v9, v9, v10, s[0:1]
	v_mul_f32_e32 v10, 0x37800000, v9
	v_cndmask_b32_e32 v9, v9, v10, vcc
	v_mov_b32_e32 v10, 0x260
	v_mul_f32_e32 v7, 0.5, v7
	v_cmp_class_f32_e32 vcc, v8, v10
	v_mul_f32_e32 v7, v12, v7
	v_cndmask_b32_e32 v8, v9, v8, vcc
	v_div_scale_f32 v9, s[0:1], v8, v8, v7
	v_div_scale_f32 v10, vcc, v7, v8, v7
	v_rcp_f32_e32 v11, v9
	v_fma_f32 v12, -v9, v11, 1.0
	v_fmac_f32_e32 v11, v12, v11
	v_mul_f32_e32 v12, v10, v11
	v_fma_f32 v13, -v9, v12, v10
	v_fmac_f32_e32 v12, v13, v11
	v_fma_f32 v9, -v9, v12, v10
	v_div_fmas_f32 v9, v9, v11, v12
	v_div_fixup_f32 v7, v9, v8, v7
.LBB18_1687:
	s_or_b64 exec, exec, s[4:5]
	s_bfe_u32 s14, s16, 0x80008
	v_mov_b32_e32 v9, s9
	v_add_co_u32_e32 v8, vcc, s8, v6
	s_cmp_lt_i32 s14, 11
	v_addc_co_u32_e32 v9, vcc, 0, v9, vcc
	s_cbranch_scc1 .LBB18_1811
; %bb.1688:
	s_and_b32 s15, 0xffff, s14
	s_mov_b64 s[10:11], -1
	s_mov_b64 s[4:5], 0
	s_cmp_gt_i32 s15, 25
	s_mov_b64 s[6:7], 0
	s_mov_b64 s[0:1], 0
	s_cbranch_scc0 .LBB18_1721
; %bb.1689:
	s_cmp_gt_i32 s15, 28
	s_cbranch_scc0 .LBB18_1704
; %bb.1690:
	s_cmp_gt_i32 s15, 43
	;; [unrolled: 3-line block ×3, first 2 shown]
	s_cbranch_scc0 .LBB18_1694
; %bb.1692:
	s_mov_b64 s[0:1], -1
	s_mov_b64 s[10:11], 0
	s_cmp_eq_u32 s15, 46
	s_cbranch_scc0 .LBB18_1694
; %bb.1693:
	v_bfe_u32 v6, v5, 16, 1
	s_movk_i32 s0, 0x7fff
	v_add3_u32 v6, v5, v6, s0
	v_cmp_o_f32_e32 vcc, v5, v5
	v_mov_b32_e32 v10, 0x7fc0
	v_cndmask_b32_sdwa v6, v10, v6, vcc dst_sel:DWORD dst_unused:UNUSED_PAD src0_sel:DWORD src1_sel:WORD_1
	global_store_dword v[8:9], v6, off
	s_mov_b64 s[0:1], 0
	s_mov_b64 s[6:7], -1
.LBB18_1694:
	s_and_b64 vcc, exec, s[10:11]
	s_cbranch_vccz .LBB18_1699
; %bb.1695:
	s_cmp_eq_u32 s15, 44
	s_mov_b64 s[0:1], -1
	s_cbranch_scc0 .LBB18_1699
; %bb.1696:
	v_bfe_u32 v6, v5, 23, 8
	s_movk_i32 s0, 0xff
	v_cmp_ne_u32_e32 vcc, s0, v6
	v_mov_b32_e32 v10, 0xff
	s_and_saveexec_b64 s[6:7], vcc
; %bb.1697:
	s_mov_b32 s0, 0x3fffff
	v_and_b32_e32 v11, 0x400000, v5
	v_and_or_b32 v6, v5, s0, v6
	v_cmp_ne_u32_e32 vcc, 0, v11
	v_cmp_ne_u32_e64 s[0:1], 0, v6
	s_and_b64 s[0:1], vcc, s[0:1]
	v_lshrrev_b32_e32 v10, 23, v5
	v_cndmask_b32_e64 v6, 0, 1, s[0:1]
	v_add_u32_e32 v10, v10, v6
; %bb.1698:
	s_or_b64 exec, exec, s[6:7]
	s_mov_b64 s[0:1], 0
	s_mov_b64 s[6:7], -1
	global_store_byte v[8:9], v10, off
.LBB18_1699:
	s_mov_b64 s[10:11], 0
.LBB18_1700:
	s_and_b64 vcc, exec, s[10:11]
	s_cbranch_vccz .LBB18_1703
; %bb.1701:
	s_cmp_eq_u32 s15, 29
	s_mov_b64 s[0:1], -1
	s_cbranch_scc0 .LBB18_1703
; %bb.1702:
	v_trunc_f32_e32 v6, v5
	v_mul_f32_e32 v10, 0x2f800000, v6
	v_floor_f32_e32 v10, v10
	v_fmac_f32_e32 v6, 0xcf800000, v10
	v_cvt_u32_f32_e32 v11, v10
	v_cvt_u32_f32_e32 v10, v6
	s_mov_b64 s[0:1], 0
	s_mov_b64 s[6:7], -1
	global_store_dwordx2 v[8:9], v[10:11], off
.LBB18_1703:
	s_mov_b64 s[10:11], 0
.LBB18_1704:
	s_and_b64 vcc, exec, s[10:11]
	s_cbranch_vccz .LBB18_1720
; %bb.1705:
	s_cmp_lt_i32 s15, 27
	s_mov_b64 s[6:7], -1
	s_cbranch_scc1 .LBB18_1711
; %bb.1706:
	v_cvt_u32_f32_e32 v6, v5
	s_cmp_gt_i32 s15, 27
	s_cbranch_scc0 .LBB18_1708
; %bb.1707:
	s_mov_b64 s[6:7], 0
	global_store_dword v[8:9], v6, off
.LBB18_1708:
	s_andn2_b64 vcc, exec, s[6:7]
	s_cbranch_vccnz .LBB18_1710
; %bb.1709:
	global_store_short v[8:9], v6, off
.LBB18_1710:
	s_mov_b64 s[6:7], 0
.LBB18_1711:
	s_andn2_b64 vcc, exec, s[6:7]
	s_cbranch_vccnz .LBB18_1719
; %bb.1712:
	v_and_b32_e32 v6, 0x7fffffff, v5
	s_mov_b32 s6, 0x43800000
	v_cmp_gt_u32_e32 vcc, s6, v6
	v_mov_b32_e32 v10, 0x80
	s_and_saveexec_b64 s[6:7], vcc
	s_cbranch_execz .LBB18_1718
; %bb.1713:
	s_mov_b32 s10, 0x3bffffff
	v_cmp_lt_u32_e32 vcc, s10, v6
	s_mov_b64 s[10:11], 0
                                        ; implicit-def: $vgpr6
	s_and_saveexec_b64 s[12:13], vcc
	s_xor_b64 s[12:13], exec, s[12:13]
	s_cbranch_execz .LBB18_2169
; %bb.1714:
	v_bfe_u32 v6, v5, 20, 1
	s_mov_b32 s17, 0x487ffff
	v_add3_u32 v6, v5, v6, s17
	s_mov_b64 s[10:11], exec
	v_lshrrev_b32_e32 v6, 20, v6
	s_andn2_saveexec_b64 s[12:13], s[12:13]
	s_cbranch_execnz .LBB18_2170
.LBB18_1715:
	s_or_b64 exec, exec, s[12:13]
	v_mov_b32_e32 v10, 0
	s_and_saveexec_b64 s[12:13], s[10:11]
.LBB18_1716:
	v_lshrrev_b32_e32 v10, 24, v5
	s_movk_i32 s10, 0x80
	v_and_or_b32 v10, v10, s10, v6
.LBB18_1717:
	s_or_b64 exec, exec, s[12:13]
.LBB18_1718:
	s_or_b64 exec, exec, s[6:7]
	global_store_byte v[8:9], v10, off
.LBB18_1719:
	s_mov_b64 s[6:7], -1
.LBB18_1720:
	s_mov_b64 s[10:11], 0
.LBB18_1721:
	s_and_b64 vcc, exec, s[10:11]
	s_cbranch_vccz .LBB18_1761
; %bb.1722:
	s_cmp_gt_i32 s15, 22
	s_mov_b64 s[4:5], -1
	s_cbranch_scc0 .LBB18_1754
; %bb.1723:
	s_cmp_lt_i32 s15, 24
	s_cbranch_scc1 .LBB18_1743
; %bb.1724:
	s_cmp_gt_i32 s15, 24
	s_cbranch_scc0 .LBB18_1732
; %bb.1725:
	v_and_b32_e32 v6, 0x7fffffff, v5
	s_mov_b32 s4, 0x47800000
	v_cmp_gt_u32_e32 vcc, s4, v6
	v_mov_b32_e32 v10, 0x80
	s_and_saveexec_b64 s[4:5], vcc
	s_cbranch_execz .LBB18_1731
; %bb.1726:
	s_mov_b32 s6, 0x37ffffff
	v_cmp_lt_u32_e32 vcc, s6, v6
	s_mov_b64 s[6:7], 0
                                        ; implicit-def: $vgpr6
	s_and_saveexec_b64 s[10:11], vcc
	s_xor_b64 s[10:11], exec, s[10:11]
	s_cbranch_execz .LBB18_2172
; %bb.1727:
	v_bfe_u32 v6, v5, 21, 1
	s_mov_b32 s12, 0x88fffff
	v_add3_u32 v6, v5, v6, s12
	s_mov_b64 s[6:7], exec
	v_lshrrev_b32_e32 v6, 21, v6
	s_andn2_saveexec_b64 s[10:11], s[10:11]
	s_cbranch_execnz .LBB18_2173
.LBB18_1728:
	s_or_b64 exec, exec, s[10:11]
	v_mov_b32_e32 v10, 0
	s_and_saveexec_b64 s[10:11], s[6:7]
.LBB18_1729:
	v_lshrrev_b32_e32 v10, 24, v5
	s_movk_i32 s6, 0x80
	v_and_or_b32 v10, v10, s6, v6
.LBB18_1730:
	s_or_b64 exec, exec, s[10:11]
.LBB18_1731:
	s_or_b64 exec, exec, s[4:5]
	s_mov_b64 s[4:5], 0
	global_store_byte v[8:9], v10, off
.LBB18_1732:
	s_and_b64 vcc, exec, s[4:5]
	s_cbranch_vccz .LBB18_1742
; %bb.1733:
	v_and_b32_e32 v10, 0x7fffffff, v5
	s_mov_b32 s4, 0x43f00000
	v_cmp_gt_u32_e32 vcc, s4, v10
                                        ; implicit-def: $vgpr6
	s_and_saveexec_b64 s[4:5], vcc
	s_xor_b64 s[4:5], exec, s[4:5]
	s_cbranch_execz .LBB18_1739
; %bb.1734:
	s_mov_b32 s6, 0x3c7fffff
	v_cmp_lt_u32_e32 vcc, s6, v10
                                        ; implicit-def: $vgpr6
	s_and_saveexec_b64 s[6:7], vcc
	s_xor_b64 s[6:7], exec, s[6:7]
; %bb.1735:
	v_bfe_u32 v6, v5, 20, 1
	s_mov_b32 s10, 0x407ffff
	v_add3_u32 v6, v5, v6, s10
	v_lshrrev_b32_e32 v10, 20, v6
	v_and_b32_e32 v6, 0xff00000, v6
	s_mov_b32 s10, 0x7f00000
	v_mov_b32_e32 v11, 0x7e
	v_cmp_ne_u32_e32 vcc, s10, v6
	v_cndmask_b32_e32 v6, v11, v10, vcc
; %bb.1736:
	s_andn2_saveexec_b64 s[6:7], s[6:7]
; %bb.1737:
	s_mov_b32 s10, 0x46800000
	v_add_f32_e64 v6, |v5|, s10
; %bb.1738:
	s_or_b64 exec, exec, s[6:7]
                                        ; implicit-def: $vgpr10
.LBB18_1739:
	s_andn2_saveexec_b64 s[4:5], s[4:5]
; %bb.1740:
	s_mov_b32 s6, 0x7f800000
	v_mov_b32_e32 v6, 0x7e
	v_mov_b32_e32 v11, 0x7f
	v_cmp_lt_u32_e32 vcc, s6, v10
	v_cndmask_b32_e32 v6, v6, v11, vcc
; %bb.1741:
	s_or_b64 exec, exec, s[4:5]
	v_lshrrev_b32_e32 v10, 24, v5
	s_movk_i32 s4, 0x80
	v_and_or_b32 v6, v10, s4, v6
	global_store_byte v[8:9], v6, off
.LBB18_1742:
	s_mov_b64 s[4:5], 0
.LBB18_1743:
	s_andn2_b64 vcc, exec, s[4:5]
	s_cbranch_vccnz .LBB18_1753
; %bb.1744:
	v_and_b32_e32 v10, 0x7fffffff, v5
	s_mov_b32 s4, 0x47800000
	v_cmp_gt_u32_e32 vcc, s4, v10
                                        ; implicit-def: $vgpr6
	s_and_saveexec_b64 s[4:5], vcc
	s_xor_b64 s[4:5], exec, s[4:5]
	s_cbranch_execz .LBB18_1750
; %bb.1745:
	s_mov_b32 s6, 0x387fffff
	v_cmp_lt_u32_e32 vcc, s6, v10
                                        ; implicit-def: $vgpr6
	s_and_saveexec_b64 s[6:7], vcc
	s_xor_b64 s[6:7], exec, s[6:7]
; %bb.1746:
	v_bfe_u32 v6, v5, 21, 1
	s_mov_b32 s10, 0x80fffff
	v_add3_u32 v6, v5, v6, s10
	v_lshrrev_b32_e32 v6, 21, v6
; %bb.1747:
	s_andn2_saveexec_b64 s[6:7], s[6:7]
; %bb.1748:
	s_mov_b32 s10, 0x43000000
	v_add_f32_e64 v6, |v5|, s10
; %bb.1749:
	s_or_b64 exec, exec, s[6:7]
                                        ; implicit-def: $vgpr10
.LBB18_1750:
	s_andn2_saveexec_b64 s[4:5], s[4:5]
; %bb.1751:
	s_mov_b32 s6, 0x7f800000
	v_mov_b32_e32 v6, 0x7c
	v_mov_b32_e32 v11, 0x7f
	v_cmp_lt_u32_e32 vcc, s6, v10
	v_cndmask_b32_e32 v6, v6, v11, vcc
; %bb.1752:
	s_or_b64 exec, exec, s[4:5]
	v_lshrrev_b32_e32 v10, 24, v5
	s_movk_i32 s4, 0x80
	v_and_or_b32 v6, v10, s4, v6
	global_store_byte v[8:9], v6, off
.LBB18_1753:
	s_mov_b64 s[4:5], 0
	s_mov_b64 s[6:7], -1
.LBB18_1754:
	s_andn2_b64 vcc, exec, s[4:5]
	s_mov_b64 s[4:5], 0
	s_cbranch_vccnz .LBB18_1761
; %bb.1755:
	s_cmp_gt_i32 s15, 14
	s_mov_b64 s[10:11], -1
	s_cbranch_scc0 .LBB18_1759
; %bb.1756:
	s_cmp_eq_u32 s15, 15
	s_mov_b64 s[0:1], -1
	s_cbranch_scc0 .LBB18_1758
; %bb.1757:
	v_bfe_u32 v6, v5, 16, 1
	s_movk_i32 s0, 0x7fff
	v_add3_u32 v6, v5, v6, s0
	v_cmp_o_f32_e32 vcc, v5, v5
	v_mov_b32_e32 v10, 0x7fc0
	v_cndmask_b32_sdwa v6, v10, v6, vcc dst_sel:DWORD dst_unused:UNUSED_PAD src0_sel:DWORD src1_sel:WORD_1
	global_store_short v[8:9], v6, off
	s_mov_b64 s[0:1], 0
	s_mov_b64 s[6:7], -1
.LBB18_1758:
	s_mov_b64 s[10:11], 0
.LBB18_1759:
	s_and_b64 vcc, exec, s[10:11]
	s_cbranch_vccz .LBB18_1761
; %bb.1760:
	s_cmp_lg_u32 s15, 11
	s_mov_b64 s[4:5], -1
	s_cselect_b64 s[0:1], -1, 0
.LBB18_1761:
	s_and_b64 vcc, exec, s[0:1]
	s_cbranch_vccnz .LBB18_2171
; %bb.1762:
	s_andn2_b64 vcc, exec, s[4:5]
	s_cbranch_vccnz .LBB18_1764
.LBB18_1763:
	v_cmp_neq_f32_e32 vcc, 0, v5
	v_cndmask_b32_e64 v6, 0, 1, vcc
	s_mov_b64 s[6:7], -1
	global_store_byte v[8:9], v6, off
.LBB18_1764:
	s_mov_b64 s[0:1], 0
	s_branch .LBB18_1812
.LBB18_1765:
	s_mov_b64 s[0:1], 0
                                        ; implicit-def: $vgpr0_vgpr1
                                        ; implicit-def: $sgpr14
                                        ; implicit-def: $vgpr7
.LBB18_1766:
	s_mov_b64 s[4:5], 0
.LBB18_1767:
	s_and_b64 s[6:7], s[4:5], exec
	s_andn2_b64 s[4:5], s[28:29], exec
	s_and_b64 s[2:3], s[2:3], exec
	s_and_b64 s[0:1], s[0:1], exec
	s_or_b64 s[28:29], s[4:5], s[2:3]
.LBB18_1768:
	s_or_b64 exec, exec, s[30:31]
	s_and_saveexec_b64 s[2:3], s[28:29]
	s_cbranch_execz .LBB18_1771
; %bb.1769:
	; divergent unreachable
	s_or_b64 exec, exec, s[2:3]
	s_and_saveexec_b64 s[2:3], s[6:7]
	s_xor_b64 s[2:3], exec, s[2:3]
	s_cbranch_execnz .LBB18_1772
.LBB18_1770:
	s_or_b64 exec, exec, s[2:3]
	s_and_saveexec_b64 s[2:3], s[0:1]
	s_cbranch_execnz .LBB18_1773
	s_branch .LBB18_1810
.LBB18_1771:
	s_or_b64 exec, exec, s[2:3]
	s_and_saveexec_b64 s[2:3], s[6:7]
	s_xor_b64 s[2:3], exec, s[2:3]
	s_cbranch_execz .LBB18_1770
.LBB18_1772:
	v_cmp_neq_f32_e32 vcc, 0, v7
	v_cndmask_b32_e64 v2, 0, 1, vcc
	s_waitcnt vmcnt(0)
	global_store_byte v[0:1], v2, off
	s_or_b64 exec, exec, s[2:3]
	s_and_saveexec_b64 s[2:3], s[0:1]
	s_cbranch_execz .LBB18_1810
.LBB18_1773:
	s_sext_i32_i16 s2, s14
	s_cmp_lt_i32 s2, 5
	s_mov_b64 s[0:1], -1
	s_cbranch_scc1 .LBB18_1794
; %bb.1774:
	s_cmp_lt_i32 s2, 8
	s_cbranch_scc1 .LBB18_1784
; %bb.1775:
	s_cmp_lt_i32 s2, 9
	s_cbranch_scc1 .LBB18_1781
; %bb.1776:
	s_cmp_gt_i32 s2, 9
	s_cbranch_scc0 .LBB18_1778
; %bb.1777:
	s_waitcnt vmcnt(0)
	v_cvt_f64_f32_e32 v[2:3], v7
	v_mov_b32_e32 v4, 0
	v_mov_b32_e32 v5, v4
	s_mov_b64 s[0:1], 0
	global_store_dwordx4 v[0:1], v[2:5], off
.LBB18_1778:
	s_andn2_b64 vcc, exec, s[0:1]
	s_cbranch_vccnz .LBB18_1780
; %bb.1779:
	v_mov_b32_e32 v8, 0
	s_waitcnt vmcnt(0)
	global_store_dwordx2 v[0:1], v[7:8], off
.LBB18_1780:
	s_mov_b64 s[0:1], 0
.LBB18_1781:
	s_andn2_b64 vcc, exec, s[0:1]
	s_cbranch_vccnz .LBB18_1783
; %bb.1782:
	v_cvt_f16_f32_e32 v2, v7
	s_waitcnt vmcnt(0)
	global_store_dword v[0:1], v2, off
.LBB18_1783:
	s_mov_b64 s[0:1], 0
.LBB18_1784:
	s_andn2_b64 vcc, exec, s[0:1]
	s_cbranch_vccnz .LBB18_1793
; %bb.1785:
	s_sext_i32_i16 s2, s14
	s_cmp_lt_i32 s2, 6
	s_mov_b64 s[0:1], -1
	s_cbranch_scc1 .LBB18_1791
; %bb.1786:
	s_cmp_gt_i32 s2, 6
	s_cbranch_scc0 .LBB18_1788
; %bb.1787:
	s_waitcnt vmcnt(0)
	v_cvt_f64_f32_e32 v[2:3], v7
	s_mov_b64 s[0:1], 0
	global_store_dwordx2 v[0:1], v[2:3], off
.LBB18_1788:
	s_andn2_b64 vcc, exec, s[0:1]
	s_cbranch_vccnz .LBB18_1790
; %bb.1789:
	s_waitcnt vmcnt(0)
	global_store_dword v[0:1], v7, off
.LBB18_1790:
	s_mov_b64 s[0:1], 0
.LBB18_1791:
	s_andn2_b64 vcc, exec, s[0:1]
	s_cbranch_vccnz .LBB18_1793
; %bb.1792:
	v_cvt_f16_f32_e32 v2, v7
	s_waitcnt vmcnt(0)
	global_store_short v[0:1], v2, off
.LBB18_1793:
	s_mov_b64 s[0:1], 0
.LBB18_1794:
	s_andn2_b64 vcc, exec, s[0:1]
	s_cbranch_vccnz .LBB18_1810
; %bb.1795:
	s_sext_i32_i16 s2, s14
	s_cmp_lt_i32 s2, 2
	s_mov_b64 s[0:1], -1
	s_cbranch_scc1 .LBB18_1805
; %bb.1796:
	s_cmp_lt_i32 s2, 3
	s_cbranch_scc1 .LBB18_1802
; %bb.1797:
	s_cmp_gt_i32 s2, 3
	s_cbranch_scc0 .LBB18_1799
; %bb.1798:
	v_trunc_f32_e32 v2, v7
	s_mov_b32 s0, 0x2f800000
	s_waitcnt vmcnt(0)
	v_mul_f32_e64 v3, |v2|, s0
	v_floor_f32_e32 v3, v3
	s_mov_b32 s0, 0xcf800000
	v_cvt_u32_f32_e32 v4, v3
	v_fma_f32 v3, v3, s0, |v2|
	v_cvt_u32_f32_e32 v3, v3
	v_ashrrev_i32_e32 v5, 31, v2
	v_xor_b32_e32 v4, v4, v5
	s_mov_b64 s[0:1], 0
	v_xor_b32_e32 v2, v3, v5
	v_sub_co_u32_e32 v2, vcc, v2, v5
	v_subb_co_u32_e32 v3, vcc, v4, v5, vcc
	global_store_dwordx2 v[0:1], v[2:3], off
.LBB18_1799:
	s_andn2_b64 vcc, exec, s[0:1]
	s_cbranch_vccnz .LBB18_1801
; %bb.1800:
	v_cvt_i32_f32_e32 v2, v7
	s_waitcnt vmcnt(0)
	global_store_dword v[0:1], v2, off
.LBB18_1801:
	s_mov_b64 s[0:1], 0
.LBB18_1802:
	s_andn2_b64 vcc, exec, s[0:1]
	s_cbranch_vccnz .LBB18_1804
; %bb.1803:
	v_cvt_i32_f32_e32 v2, v7
	s_waitcnt vmcnt(0)
	global_store_short v[0:1], v2, off
.LBB18_1804:
	s_mov_b64 s[0:1], 0
.LBB18_1805:
	s_andn2_b64 vcc, exec, s[0:1]
	s_cbranch_vccnz .LBB18_1810
; %bb.1806:
	s_sext_i32_i16 s0, s14
	s_cmp_gt_i32 s0, 0
	s_mov_b64 s[0:1], -1
	s_cbranch_scc0 .LBB18_1808
; %bb.1807:
	v_cvt_i32_f32_e32 v2, v7
	s_mov_b64 s[0:1], 0
	s_waitcnt vmcnt(0)
	global_store_byte v[0:1], v2, off
.LBB18_1808:
	s_andn2_b64 vcc, exec, s[0:1]
	s_cbranch_vccnz .LBB18_1810
; %bb.1809:
	v_trunc_f32_e32 v2, v7
	s_mov_b32 s0, 0x2f800000
	s_waitcnt vmcnt(0)
	v_mul_f32_e64 v3, |v2|, s0
	v_floor_f32_e32 v3, v3
	s_mov_b32 s0, 0xcf800000
	v_fma_f32 v3, v3, s0, |v2|
	v_cvt_u32_f32_e32 v3, v3
	v_ashrrev_i32_e32 v2, 31, v2
	v_xor_b32_e32 v3, v3, v2
	v_sub_u32_e32 v2, v3, v2
	global_store_byte v[0:1], v2, off
	s_endpgm
.LBB18_1810:
	s_endpgm
.LBB18_1811:
	s_mov_b64 s[0:1], -1
	s_mov_b64 s[6:7], 0
.LBB18_1812:
	s_and_b64 vcc, exec, s[0:1]
	s_cbranch_vccz .LBB18_1851
; %bb.1813:
	s_and_b32 s4, 0xffff, s14
	s_cmp_lt_i32 s4, 5
	s_mov_b64 s[0:1], -1
	s_cbranch_scc1 .LBB18_1834
; %bb.1814:
	s_cmp_lt_i32 s4, 8
	s_cbranch_scc1 .LBB18_1824
; %bb.1815:
	s_cmp_lt_i32 s4, 9
	s_cbranch_scc1 .LBB18_1821
; %bb.1816:
	s_cmp_gt_i32 s4, 9
	s_cbranch_scc0 .LBB18_1818
; %bb.1817:
	v_cvt_f64_f32_e32 v[10:11], v5
	v_mov_b32_e32 v12, 0
	v_mov_b32_e32 v13, v12
	s_mov_b64 s[0:1], 0
	global_store_dwordx4 v[8:9], v[10:13], off
.LBB18_1818:
	s_andn2_b64 vcc, exec, s[0:1]
	s_cbranch_vccnz .LBB18_1820
; %bb.1819:
	v_mov_b32_e32 v6, 0
	global_store_dwordx2 v[8:9], v[5:6], off
.LBB18_1820:
	s_mov_b64 s[0:1], 0
.LBB18_1821:
	s_andn2_b64 vcc, exec, s[0:1]
	s_cbranch_vccnz .LBB18_1823
; %bb.1822:
	v_cvt_f16_f32_e32 v6, v5
	global_store_dword v[8:9], v6, off
.LBB18_1823:
	s_mov_b64 s[0:1], 0
.LBB18_1824:
	s_andn2_b64 vcc, exec, s[0:1]
	s_cbranch_vccnz .LBB18_1833
; %bb.1825:
	s_cmp_lt_i32 s4, 6
	s_mov_b64 s[0:1], -1
	s_cbranch_scc1 .LBB18_1831
; %bb.1826:
	s_cmp_gt_i32 s4, 6
	s_cbranch_scc0 .LBB18_1828
; %bb.1827:
	v_cvt_f64_f32_e32 v[10:11], v5
	s_mov_b64 s[0:1], 0
	global_store_dwordx2 v[8:9], v[10:11], off
.LBB18_1828:
	s_andn2_b64 vcc, exec, s[0:1]
	s_cbranch_vccnz .LBB18_1830
; %bb.1829:
	global_store_dword v[8:9], v5, off
.LBB18_1830:
	s_mov_b64 s[0:1], 0
.LBB18_1831:
	s_andn2_b64 vcc, exec, s[0:1]
	s_cbranch_vccnz .LBB18_1833
; %bb.1832:
	v_cvt_f16_f32_e32 v6, v5
	global_store_short v[8:9], v6, off
.LBB18_1833:
	s_mov_b64 s[0:1], 0
.LBB18_1834:
	s_andn2_b64 vcc, exec, s[0:1]
	s_cbranch_vccnz .LBB18_1850
; %bb.1835:
	s_cmp_lt_i32 s4, 2
	s_mov_b64 s[0:1], -1
	s_cbranch_scc1 .LBB18_1845
; %bb.1836:
	s_cmp_lt_i32 s4, 3
	s_cbranch_scc1 .LBB18_1842
; %bb.1837:
	s_cmp_gt_i32 s4, 3
	s_cbranch_scc0 .LBB18_1839
; %bb.1838:
	v_trunc_f32_e32 v6, v5
	s_mov_b32 s0, 0x2f800000
	v_mul_f32_e64 v10, |v6|, s0
	v_floor_f32_e32 v10, v10
	s_mov_b32 s0, 0xcf800000
	v_cvt_u32_f32_e32 v11, v10
	v_fma_f32 v10, v10, s0, |v6|
	v_cvt_u32_f32_e32 v10, v10
	v_ashrrev_i32_e32 v6, 31, v6
	v_xor_b32_e32 v11, v11, v6
	s_mov_b64 s[0:1], 0
	v_xor_b32_e32 v10, v10, v6
	v_sub_co_u32_e32 v10, vcc, v10, v6
	v_subb_co_u32_e32 v11, vcc, v11, v6, vcc
	global_store_dwordx2 v[8:9], v[10:11], off
.LBB18_1839:
	s_andn2_b64 vcc, exec, s[0:1]
	s_cbranch_vccnz .LBB18_1841
; %bb.1840:
	v_cvt_i32_f32_e32 v6, v5
	global_store_dword v[8:9], v6, off
.LBB18_1841:
	s_mov_b64 s[0:1], 0
.LBB18_1842:
	s_andn2_b64 vcc, exec, s[0:1]
	s_cbranch_vccnz .LBB18_1844
; %bb.1843:
	v_cvt_i32_f32_e32 v6, v5
	global_store_short v[8:9], v6, off
.LBB18_1844:
	s_mov_b64 s[0:1], 0
.LBB18_1845:
	s_andn2_b64 vcc, exec, s[0:1]
	s_cbranch_vccnz .LBB18_1850
; %bb.1846:
	s_cmp_gt_i32 s4, 0
	s_mov_b64 s[0:1], -1
	s_cbranch_scc0 .LBB18_1848
; %bb.1847:
	v_cvt_i32_f32_e32 v6, v5
	s_mov_b64 s[0:1], 0
	global_store_byte v[8:9], v6, off
.LBB18_1848:
	s_andn2_b64 vcc, exec, s[0:1]
	s_cbranch_vccnz .LBB18_1850
; %bb.1849:
	v_trunc_f32_e32 v5, v5
	s_mov_b32 s0, 0x2f800000
	v_mul_f32_e64 v6, |v5|, s0
	v_floor_f32_e32 v6, v6
	s_mov_b32 s0, 0xcf800000
	v_fma_f32 v6, v6, s0, |v5|
	v_cvt_u32_f32_e32 v6, v6
	v_ashrrev_i32_e32 v5, 31, v5
	v_xor_b32_e32 v6, v6, v5
	v_sub_u32_e32 v5, v6, v5
	global_store_byte v[8:9], v5, off
.LBB18_1850:
	s_mov_b64 s[6:7], -1
.LBB18_1851:
	s_andn2_b64 vcc, exec, s[6:7]
	s_cbranch_vccnz .LBB18_2166
; %bb.1852:
	s_lshr_b32 s0, s16, 8
	s_and_b32 s14, s0, 0xff
	v_mov_b32_e32 v6, s9
	v_add_co_u32_e32 v5, vcc, s8, v4
	s_cmp_lt_i32 s14, 11
	v_addc_co_u32_e32 v6, vcc, 0, v6, vcc
	s_cbranch_scc1 .LBB18_1930
; %bb.1853:
	s_and_b32 s15, 0xffff, s14
	s_mov_b64 s[10:11], -1
	s_mov_b64 s[4:5], 0
	s_cmp_gt_i32 s15, 25
	s_mov_b64 s[6:7], 0
	s_mov_b64 s[0:1], 0
	s_cbranch_scc0 .LBB18_1886
; %bb.1854:
	s_cmp_gt_i32 s15, 28
	s_cbranch_scc0 .LBB18_1869
; %bb.1855:
	s_cmp_gt_i32 s15, 43
	;; [unrolled: 3-line block ×3, first 2 shown]
	s_cbranch_scc0 .LBB18_1859
; %bb.1857:
	s_mov_b64 s[0:1], -1
	s_mov_b64 s[10:11], 0
	s_cmp_eq_u32 s15, 46
	s_cbranch_scc0 .LBB18_1859
; %bb.1858:
	v_bfe_u32 v4, v3, 16, 1
	s_movk_i32 s0, 0x7fff
	v_add3_u32 v4, v3, v4, s0
	v_cmp_o_f32_e32 vcc, v3, v3
	v_mov_b32_e32 v8, 0x7fc0
	v_cndmask_b32_sdwa v4, v8, v4, vcc dst_sel:DWORD dst_unused:UNUSED_PAD src0_sel:DWORD src1_sel:WORD_1
	global_store_dword v[5:6], v4, off
	s_mov_b64 s[0:1], 0
	s_mov_b64 s[6:7], -1
.LBB18_1859:
	s_and_b64 vcc, exec, s[10:11]
	s_cbranch_vccz .LBB18_1864
; %bb.1860:
	s_cmp_eq_u32 s15, 44
	s_mov_b64 s[0:1], -1
	s_cbranch_scc0 .LBB18_1864
; %bb.1861:
	v_bfe_u32 v4, v3, 23, 8
	s_movk_i32 s0, 0xff
	v_cmp_ne_u32_e32 vcc, s0, v4
	v_mov_b32_e32 v8, 0xff
	s_and_saveexec_b64 s[6:7], vcc
; %bb.1862:
	s_mov_b32 s0, 0x3fffff
	v_and_b32_e32 v9, 0x400000, v3
	v_and_or_b32 v4, v3, s0, v4
	v_cmp_ne_u32_e32 vcc, 0, v9
	v_cmp_ne_u32_e64 s[0:1], 0, v4
	s_and_b64 s[0:1], vcc, s[0:1]
	v_lshrrev_b32_e32 v8, 23, v3
	v_cndmask_b32_e64 v4, 0, 1, s[0:1]
	v_add_u32_e32 v8, v8, v4
; %bb.1863:
	s_or_b64 exec, exec, s[6:7]
	s_mov_b64 s[0:1], 0
	s_mov_b64 s[6:7], -1
	global_store_byte v[5:6], v8, off
.LBB18_1864:
	s_mov_b64 s[10:11], 0
.LBB18_1865:
	s_and_b64 vcc, exec, s[10:11]
	s_cbranch_vccz .LBB18_1868
; %bb.1866:
	s_cmp_eq_u32 s15, 29
	s_mov_b64 s[0:1], -1
	s_cbranch_scc0 .LBB18_1868
; %bb.1867:
	v_trunc_f32_e32 v4, v3
	v_mul_f32_e32 v8, 0x2f800000, v4
	v_floor_f32_e32 v8, v8
	v_fmac_f32_e32 v4, 0xcf800000, v8
	v_cvt_u32_f32_e32 v9, v8
	v_cvt_u32_f32_e32 v8, v4
	s_mov_b64 s[0:1], 0
	s_mov_b64 s[6:7], -1
	global_store_dwordx2 v[5:6], v[8:9], off
.LBB18_1868:
	s_mov_b64 s[10:11], 0
.LBB18_1869:
	s_and_b64 vcc, exec, s[10:11]
	s_cbranch_vccz .LBB18_1885
; %bb.1870:
	s_cmp_lt_i32 s15, 27
	s_mov_b64 s[6:7], -1
	s_cbranch_scc1 .LBB18_1876
; %bb.1871:
	s_cmp_gt_i32 s15, 27
	s_cbranch_scc0 .LBB18_1873
; %bb.1872:
	v_cvt_u32_f32_e32 v4, v3
	s_mov_b64 s[6:7], 0
	global_store_dword v[5:6], v4, off
.LBB18_1873:
	s_andn2_b64 vcc, exec, s[6:7]
	s_cbranch_vccnz .LBB18_1875
; %bb.1874:
	v_cvt_u32_f32_e32 v4, v3
	global_store_short v[5:6], v4, off
.LBB18_1875:
	s_mov_b64 s[6:7], 0
.LBB18_1876:
	s_andn2_b64 vcc, exec, s[6:7]
	s_cbranch_vccnz .LBB18_1884
; %bb.1877:
	v_and_b32_e32 v4, 0x7fffffff, v3
	s_mov_b32 s6, 0x43800000
	v_cmp_gt_u32_e32 vcc, s6, v4
	v_mov_b32_e32 v8, 0x80
	s_and_saveexec_b64 s[6:7], vcc
	s_cbranch_execz .LBB18_1883
; %bb.1878:
	s_mov_b32 s10, 0x3bffffff
	v_cmp_lt_u32_e32 vcc, s10, v4
	s_mov_b64 s[10:11], 0
                                        ; implicit-def: $vgpr4
	s_and_saveexec_b64 s[12:13], vcc
	s_xor_b64 s[12:13], exec, s[12:13]
	s_cbranch_execz .LBB18_2174
; %bb.1879:
	v_bfe_u32 v4, v3, 20, 1
	s_mov_b32 s16, 0x487ffff
	v_add3_u32 v4, v3, v4, s16
	s_mov_b64 s[10:11], exec
	v_lshrrev_b32_e32 v4, 20, v4
	s_andn2_saveexec_b64 s[12:13], s[12:13]
	s_cbranch_execnz .LBB18_2175
.LBB18_1880:
	s_or_b64 exec, exec, s[12:13]
	v_mov_b32_e32 v8, 0
	s_and_saveexec_b64 s[12:13], s[10:11]
.LBB18_1881:
	v_lshrrev_b32_e32 v8, 24, v3
	s_movk_i32 s10, 0x80
	v_and_or_b32 v8, v8, s10, v4
.LBB18_1882:
	s_or_b64 exec, exec, s[12:13]
.LBB18_1883:
	s_or_b64 exec, exec, s[6:7]
	global_store_byte v[5:6], v8, off
.LBB18_1884:
	s_mov_b64 s[6:7], -1
.LBB18_1885:
	s_mov_b64 s[10:11], 0
.LBB18_1886:
	s_and_b64 vcc, exec, s[10:11]
	s_cbranch_vccz .LBB18_1926
; %bb.1887:
	s_cmp_gt_i32 s15, 22
	s_mov_b64 s[4:5], -1
	s_cbranch_scc0 .LBB18_1919
; %bb.1888:
	s_cmp_lt_i32 s15, 24
	s_cbranch_scc1 .LBB18_1908
; %bb.1889:
	s_cmp_gt_i32 s15, 24
	s_cbranch_scc0 .LBB18_1897
; %bb.1890:
	v_and_b32_e32 v4, 0x7fffffff, v3
	s_mov_b32 s4, 0x47800000
	v_cmp_gt_u32_e32 vcc, s4, v4
	v_mov_b32_e32 v8, 0x80
	s_and_saveexec_b64 s[4:5], vcc
	s_cbranch_execz .LBB18_1896
; %bb.1891:
	s_mov_b32 s6, 0x37ffffff
	v_cmp_lt_u32_e32 vcc, s6, v4
	s_mov_b64 s[6:7], 0
                                        ; implicit-def: $vgpr4
	s_and_saveexec_b64 s[10:11], vcc
	s_xor_b64 s[10:11], exec, s[10:11]
	s_cbranch_execz .LBB18_2177
; %bb.1892:
	v_bfe_u32 v4, v3, 21, 1
	s_mov_b32 s12, 0x88fffff
	v_add3_u32 v4, v3, v4, s12
	s_mov_b64 s[6:7], exec
	v_lshrrev_b32_e32 v4, 21, v4
	s_andn2_saveexec_b64 s[10:11], s[10:11]
	s_cbranch_execnz .LBB18_2178
.LBB18_1893:
	s_or_b64 exec, exec, s[10:11]
	v_mov_b32_e32 v8, 0
	s_and_saveexec_b64 s[10:11], s[6:7]
.LBB18_1894:
	v_lshrrev_b32_e32 v8, 24, v3
	s_movk_i32 s6, 0x80
	v_and_or_b32 v8, v8, s6, v4
.LBB18_1895:
	s_or_b64 exec, exec, s[10:11]
.LBB18_1896:
	s_or_b64 exec, exec, s[4:5]
	s_mov_b64 s[4:5], 0
	global_store_byte v[5:6], v8, off
.LBB18_1897:
	s_and_b64 vcc, exec, s[4:5]
	s_cbranch_vccz .LBB18_1907
; %bb.1898:
	v_and_b32_e32 v8, 0x7fffffff, v3
	s_mov_b32 s4, 0x43f00000
	v_cmp_gt_u32_e32 vcc, s4, v8
                                        ; implicit-def: $vgpr4
	s_and_saveexec_b64 s[4:5], vcc
	s_xor_b64 s[4:5], exec, s[4:5]
	s_cbranch_execz .LBB18_1904
; %bb.1899:
	s_mov_b32 s6, 0x3c7fffff
	v_cmp_lt_u32_e32 vcc, s6, v8
                                        ; implicit-def: $vgpr4
	s_and_saveexec_b64 s[6:7], vcc
	s_xor_b64 s[6:7], exec, s[6:7]
; %bb.1900:
	v_bfe_u32 v4, v3, 20, 1
	s_mov_b32 s10, 0x407ffff
	v_add3_u32 v4, v3, v4, s10
	v_lshrrev_b32_e32 v8, 20, v4
	v_and_b32_e32 v4, 0xff00000, v4
	s_mov_b32 s10, 0x7f00000
	v_mov_b32_e32 v9, 0x7e
	v_cmp_ne_u32_e32 vcc, s10, v4
	v_cndmask_b32_e32 v4, v9, v8, vcc
; %bb.1901:
	s_andn2_saveexec_b64 s[6:7], s[6:7]
; %bb.1902:
	s_mov_b32 s10, 0x46800000
	v_add_f32_e64 v4, |v3|, s10
; %bb.1903:
	s_or_b64 exec, exec, s[6:7]
                                        ; implicit-def: $vgpr8
.LBB18_1904:
	s_andn2_saveexec_b64 s[4:5], s[4:5]
; %bb.1905:
	s_mov_b32 s6, 0x7f800000
	v_mov_b32_e32 v4, 0x7e
	v_mov_b32_e32 v9, 0x7f
	v_cmp_lt_u32_e32 vcc, s6, v8
	v_cndmask_b32_e32 v4, v4, v9, vcc
; %bb.1906:
	s_or_b64 exec, exec, s[4:5]
	v_lshrrev_b32_e32 v8, 24, v3
	s_movk_i32 s4, 0x80
	v_and_or_b32 v4, v8, s4, v4
	global_store_byte v[5:6], v4, off
.LBB18_1907:
	s_mov_b64 s[4:5], 0
.LBB18_1908:
	s_andn2_b64 vcc, exec, s[4:5]
	s_cbranch_vccnz .LBB18_1918
; %bb.1909:
	v_and_b32_e32 v8, 0x7fffffff, v3
	s_mov_b32 s4, 0x47800000
	v_cmp_gt_u32_e32 vcc, s4, v8
                                        ; implicit-def: $vgpr4
	s_and_saveexec_b64 s[4:5], vcc
	s_xor_b64 s[4:5], exec, s[4:5]
	s_cbranch_execz .LBB18_1915
; %bb.1910:
	s_mov_b32 s6, 0x387fffff
	v_cmp_lt_u32_e32 vcc, s6, v8
                                        ; implicit-def: $vgpr4
	s_and_saveexec_b64 s[6:7], vcc
	s_xor_b64 s[6:7], exec, s[6:7]
; %bb.1911:
	v_bfe_u32 v4, v3, 21, 1
	s_mov_b32 s10, 0x80fffff
	v_add3_u32 v4, v3, v4, s10
	v_lshrrev_b32_e32 v4, 21, v4
; %bb.1912:
	s_andn2_saveexec_b64 s[6:7], s[6:7]
; %bb.1913:
	s_mov_b32 s10, 0x43000000
	v_add_f32_e64 v4, |v3|, s10
; %bb.1914:
	s_or_b64 exec, exec, s[6:7]
                                        ; implicit-def: $vgpr8
.LBB18_1915:
	s_andn2_saveexec_b64 s[4:5], s[4:5]
; %bb.1916:
	s_mov_b32 s6, 0x7f800000
	v_mov_b32_e32 v4, 0x7c
	v_mov_b32_e32 v9, 0x7f
	v_cmp_lt_u32_e32 vcc, s6, v8
	v_cndmask_b32_e32 v4, v4, v9, vcc
; %bb.1917:
	s_or_b64 exec, exec, s[4:5]
	v_lshrrev_b32_e32 v8, 24, v3
	s_movk_i32 s4, 0x80
	v_and_or_b32 v4, v8, s4, v4
	global_store_byte v[5:6], v4, off
.LBB18_1918:
	s_mov_b64 s[4:5], 0
	s_mov_b64 s[6:7], -1
.LBB18_1919:
	s_andn2_b64 vcc, exec, s[4:5]
	s_mov_b64 s[4:5], 0
	s_cbranch_vccnz .LBB18_1926
; %bb.1920:
	s_cmp_gt_i32 s15, 14
	s_mov_b64 s[10:11], -1
	s_cbranch_scc0 .LBB18_1924
; %bb.1921:
	s_cmp_eq_u32 s15, 15
	s_mov_b64 s[0:1], -1
	s_cbranch_scc0 .LBB18_1923
; %bb.1922:
	v_bfe_u32 v4, v3, 16, 1
	s_movk_i32 s0, 0x7fff
	v_add3_u32 v4, v3, v4, s0
	v_cmp_o_f32_e32 vcc, v3, v3
	v_mov_b32_e32 v8, 0x7fc0
	v_cndmask_b32_sdwa v4, v8, v4, vcc dst_sel:DWORD dst_unused:UNUSED_PAD src0_sel:DWORD src1_sel:WORD_1
	global_store_short v[5:6], v4, off
	s_mov_b64 s[0:1], 0
	s_mov_b64 s[6:7], -1
.LBB18_1923:
	s_mov_b64 s[10:11], 0
.LBB18_1924:
	s_and_b64 vcc, exec, s[10:11]
	s_cbranch_vccz .LBB18_1926
; %bb.1925:
	s_cmp_lg_u32 s15, 11
	s_mov_b64 s[4:5], -1
	s_cselect_b64 s[0:1], -1, 0
.LBB18_1926:
	s_and_b64 vcc, exec, s[0:1]
	s_cbranch_vccnz .LBB18_2176
; %bb.1927:
	s_andn2_b64 vcc, exec, s[4:5]
	s_cbranch_vccnz .LBB18_1929
.LBB18_1928:
	v_cmp_neq_f32_e32 vcc, 0, v3
	v_cndmask_b32_e64 v4, 0, 1, vcc
	s_mov_b64 s[6:7], -1
	global_store_byte v[5:6], v4, off
.LBB18_1929:
	s_mov_b64 s[0:1], 0
	s_branch .LBB18_1931
.LBB18_1930:
	s_mov_b64 s[0:1], -1
	s_mov_b64 s[6:7], 0
.LBB18_1931:
	s_and_b64 vcc, exec, s[0:1]
	s_cbranch_vccz .LBB18_1970
; %bb.1932:
	s_and_b32 s4, 0xffff, s14
	s_cmp_lt_i32 s4, 5
	s_mov_b64 s[0:1], -1
	s_cbranch_scc1 .LBB18_1953
; %bb.1933:
	s_cmp_lt_i32 s4, 8
	s_cbranch_scc1 .LBB18_1943
; %bb.1934:
	s_cmp_lt_i32 s4, 9
	s_cbranch_scc1 .LBB18_1940
; %bb.1935:
	s_cmp_gt_i32 s4, 9
	s_cbranch_scc0 .LBB18_1937
; %bb.1936:
	v_cvt_f64_f32_e32 v[8:9], v3
	v_mov_b32_e32 v10, 0
	v_mov_b32_e32 v11, v10
	s_mov_b64 s[0:1], 0
	global_store_dwordx4 v[5:6], v[8:11], off
.LBB18_1937:
	s_andn2_b64 vcc, exec, s[0:1]
	s_cbranch_vccnz .LBB18_1939
; %bb.1938:
	v_mov_b32_e32 v4, 0
	global_store_dwordx2 v[5:6], v[3:4], off
.LBB18_1939:
	s_mov_b64 s[0:1], 0
.LBB18_1940:
	s_andn2_b64 vcc, exec, s[0:1]
	s_cbranch_vccnz .LBB18_1942
; %bb.1941:
	v_cvt_f16_f32_e32 v4, v3
	global_store_dword v[5:6], v4, off
.LBB18_1942:
	s_mov_b64 s[0:1], 0
.LBB18_1943:
	s_andn2_b64 vcc, exec, s[0:1]
	s_cbranch_vccnz .LBB18_1952
; %bb.1944:
	s_cmp_lt_i32 s4, 6
	s_mov_b64 s[0:1], -1
	s_cbranch_scc1 .LBB18_1950
; %bb.1945:
	s_cmp_gt_i32 s4, 6
	s_cbranch_scc0 .LBB18_1947
; %bb.1946:
	v_cvt_f64_f32_e32 v[8:9], v3
	s_mov_b64 s[0:1], 0
	global_store_dwordx2 v[5:6], v[8:9], off
.LBB18_1947:
	s_andn2_b64 vcc, exec, s[0:1]
	s_cbranch_vccnz .LBB18_1949
; %bb.1948:
	global_store_dword v[5:6], v3, off
.LBB18_1949:
	s_mov_b64 s[0:1], 0
.LBB18_1950:
	s_andn2_b64 vcc, exec, s[0:1]
	s_cbranch_vccnz .LBB18_1952
; %bb.1951:
	v_cvt_f16_f32_e32 v4, v3
	global_store_short v[5:6], v4, off
.LBB18_1952:
	s_mov_b64 s[0:1], 0
.LBB18_1953:
	s_andn2_b64 vcc, exec, s[0:1]
	s_cbranch_vccnz .LBB18_1969
; %bb.1954:
	s_cmp_lt_i32 s4, 2
	s_mov_b64 s[0:1], -1
	s_cbranch_scc1 .LBB18_1964
; %bb.1955:
	s_cmp_lt_i32 s4, 3
	s_cbranch_scc1 .LBB18_1961
; %bb.1956:
	s_cmp_gt_i32 s4, 3
	s_cbranch_scc0 .LBB18_1958
; %bb.1957:
	v_trunc_f32_e32 v4, v3
	s_mov_b32 s0, 0x2f800000
	v_mul_f32_e64 v8, |v4|, s0
	v_floor_f32_e32 v8, v8
	s_mov_b32 s0, 0xcf800000
	v_cvt_u32_f32_e32 v9, v8
	v_fma_f32 v8, v8, s0, |v4|
	v_cvt_u32_f32_e32 v8, v8
	v_ashrrev_i32_e32 v4, 31, v4
	v_xor_b32_e32 v9, v9, v4
	s_mov_b64 s[0:1], 0
	v_xor_b32_e32 v8, v8, v4
	v_sub_co_u32_e32 v8, vcc, v8, v4
	v_subb_co_u32_e32 v9, vcc, v9, v4, vcc
	global_store_dwordx2 v[5:6], v[8:9], off
.LBB18_1958:
	s_andn2_b64 vcc, exec, s[0:1]
	s_cbranch_vccnz .LBB18_1960
; %bb.1959:
	v_cvt_i32_f32_e32 v4, v3
	global_store_dword v[5:6], v4, off
.LBB18_1960:
	s_mov_b64 s[0:1], 0
.LBB18_1961:
	s_andn2_b64 vcc, exec, s[0:1]
	s_cbranch_vccnz .LBB18_1963
; %bb.1962:
	v_cvt_i32_f32_e32 v4, v3
	global_store_short v[5:6], v4, off
.LBB18_1963:
	s_mov_b64 s[0:1], 0
.LBB18_1964:
	s_andn2_b64 vcc, exec, s[0:1]
	s_cbranch_vccnz .LBB18_1969
; %bb.1965:
	s_cmp_gt_i32 s4, 0
	s_mov_b64 s[0:1], -1
	s_cbranch_scc0 .LBB18_1967
; %bb.1966:
	v_cvt_i32_f32_e32 v4, v3
	s_mov_b64 s[0:1], 0
	global_store_byte v[5:6], v4, off
.LBB18_1967:
	s_andn2_b64 vcc, exec, s[0:1]
	s_cbranch_vccnz .LBB18_1969
; %bb.1968:
	v_trunc_f32_e32 v3, v3
	s_mov_b32 s0, 0x2f800000
	v_mul_f32_e64 v4, |v3|, s0
	v_floor_f32_e32 v4, v4
	s_mov_b32 s0, 0xcf800000
	v_fma_f32 v4, v4, s0, |v3|
	v_cvt_u32_f32_e32 v4, v4
	v_ashrrev_i32_e32 v3, 31, v3
	v_xor_b32_e32 v4, v4, v3
	v_sub_u32_e32 v3, v4, v3
	global_store_byte v[5:6], v3, off
.LBB18_1969:
	s_mov_b64 s[6:7], -1
.LBB18_1970:
	s_andn2_b64 vcc, exec, s[6:7]
	s_cbranch_vccnz .LBB18_2166
; %bb.1971:
	v_mov_b32_e32 v4, s9
	v_add_co_u32_e32 v3, vcc, s8, v2
	s_cmp_lt_i32 s14, 11
	v_addc_co_u32_e32 v4, vcc, 0, v4, vcc
	s_cbranch_scc1 .LBB18_2049
; %bb.1972:
	s_and_b32 s15, 0xffff, s14
	s_mov_b64 s[10:11], -1
	s_mov_b64 s[4:5], 0
	s_cmp_gt_i32 s15, 25
	s_mov_b64 s[6:7], 0
	s_mov_b64 s[0:1], 0
	s_cbranch_scc0 .LBB18_2005
; %bb.1973:
	s_cmp_gt_i32 s15, 28
	s_cbranch_scc0 .LBB18_1988
; %bb.1974:
	s_cmp_gt_i32 s15, 43
	;; [unrolled: 3-line block ×3, first 2 shown]
	s_cbranch_scc0 .LBB18_1978
; %bb.1976:
	s_mov_b64 s[0:1], -1
	s_mov_b64 s[10:11], 0
	s_cmp_eq_u32 s15, 46
	s_cbranch_scc0 .LBB18_1978
; %bb.1977:
	v_bfe_u32 v2, v1, 16, 1
	s_movk_i32 s0, 0x7fff
	v_add3_u32 v2, v1, v2, s0
	v_cmp_o_f32_e32 vcc, v1, v1
	v_mov_b32_e32 v5, 0x7fc0
	v_cndmask_b32_sdwa v2, v5, v2, vcc dst_sel:DWORD dst_unused:UNUSED_PAD src0_sel:DWORD src1_sel:WORD_1
	global_store_dword v[3:4], v2, off
	s_mov_b64 s[0:1], 0
	s_mov_b64 s[6:7], -1
.LBB18_1978:
	s_and_b64 vcc, exec, s[10:11]
	s_cbranch_vccz .LBB18_1983
; %bb.1979:
	s_cmp_eq_u32 s15, 44
	s_mov_b64 s[0:1], -1
	s_cbranch_scc0 .LBB18_1983
; %bb.1980:
	v_bfe_u32 v2, v1, 23, 8
	s_movk_i32 s0, 0xff
	v_cmp_ne_u32_e32 vcc, s0, v2
	v_mov_b32_e32 v5, 0xff
	s_and_saveexec_b64 s[6:7], vcc
; %bb.1981:
	s_mov_b32 s0, 0x3fffff
	v_and_b32_e32 v6, 0x400000, v1
	v_and_or_b32 v2, v1, s0, v2
	v_cmp_ne_u32_e32 vcc, 0, v6
	v_cmp_ne_u32_e64 s[0:1], 0, v2
	s_and_b64 s[0:1], vcc, s[0:1]
	v_lshrrev_b32_e32 v5, 23, v1
	v_cndmask_b32_e64 v2, 0, 1, s[0:1]
	v_add_u32_e32 v5, v5, v2
; %bb.1982:
	s_or_b64 exec, exec, s[6:7]
	s_mov_b64 s[0:1], 0
	s_mov_b64 s[6:7], -1
	global_store_byte v[3:4], v5, off
.LBB18_1983:
	s_mov_b64 s[10:11], 0
.LBB18_1984:
	s_and_b64 vcc, exec, s[10:11]
	s_cbranch_vccz .LBB18_1987
; %bb.1985:
	s_cmp_eq_u32 s15, 29
	s_mov_b64 s[0:1], -1
	s_cbranch_scc0 .LBB18_1987
; %bb.1986:
	v_trunc_f32_e32 v2, v1
	v_mul_f32_e32 v5, 0x2f800000, v2
	v_floor_f32_e32 v5, v5
	v_fmac_f32_e32 v2, 0xcf800000, v5
	v_cvt_u32_f32_e32 v6, v5
	v_cvt_u32_f32_e32 v5, v2
	s_mov_b64 s[0:1], 0
	s_mov_b64 s[6:7], -1
	global_store_dwordx2 v[3:4], v[5:6], off
.LBB18_1987:
	s_mov_b64 s[10:11], 0
.LBB18_1988:
	s_and_b64 vcc, exec, s[10:11]
	s_cbranch_vccz .LBB18_2004
; %bb.1989:
	s_cmp_lt_i32 s15, 27
	s_mov_b64 s[6:7], -1
	s_cbranch_scc1 .LBB18_1995
; %bb.1990:
	v_cvt_u32_f32_e32 v2, v1
	s_cmp_gt_i32 s15, 27
	s_cbranch_scc0 .LBB18_1992
; %bb.1991:
	s_mov_b64 s[6:7], 0
	global_store_dword v[3:4], v2, off
.LBB18_1992:
	s_andn2_b64 vcc, exec, s[6:7]
	s_cbranch_vccnz .LBB18_1994
; %bb.1993:
	global_store_short v[3:4], v2, off
.LBB18_1994:
	s_mov_b64 s[6:7], 0
.LBB18_1995:
	s_andn2_b64 vcc, exec, s[6:7]
	s_cbranch_vccnz .LBB18_2003
; %bb.1996:
	v_and_b32_e32 v2, 0x7fffffff, v1
	s_mov_b32 s6, 0x43800000
	v_cmp_gt_u32_e32 vcc, s6, v2
	v_mov_b32_e32 v5, 0x80
	s_and_saveexec_b64 s[6:7], vcc
	s_cbranch_execz .LBB18_2002
; %bb.1997:
	s_mov_b32 s10, 0x3bffffff
	v_cmp_lt_u32_e32 vcc, s10, v2
	s_mov_b64 s[10:11], 0
                                        ; implicit-def: $vgpr2
	s_and_saveexec_b64 s[12:13], vcc
	s_xor_b64 s[12:13], exec, s[12:13]
	s_cbranch_execz .LBB18_2179
; %bb.1998:
	v_bfe_u32 v2, v1, 20, 1
	s_mov_b32 s16, 0x487ffff
	v_add3_u32 v2, v1, v2, s16
	s_mov_b64 s[10:11], exec
	v_lshrrev_b32_e32 v2, 20, v2
	s_andn2_saveexec_b64 s[12:13], s[12:13]
	s_cbranch_execnz .LBB18_2180
.LBB18_1999:
	s_or_b64 exec, exec, s[12:13]
	v_mov_b32_e32 v5, 0
	s_and_saveexec_b64 s[12:13], s[10:11]
.LBB18_2000:
	v_lshrrev_b32_e32 v5, 24, v1
	s_movk_i32 s10, 0x80
	v_and_or_b32 v5, v5, s10, v2
.LBB18_2001:
	s_or_b64 exec, exec, s[12:13]
.LBB18_2002:
	s_or_b64 exec, exec, s[6:7]
	global_store_byte v[3:4], v5, off
.LBB18_2003:
	s_mov_b64 s[6:7], -1
.LBB18_2004:
	s_mov_b64 s[10:11], 0
.LBB18_2005:
	s_and_b64 vcc, exec, s[10:11]
	s_cbranch_vccz .LBB18_2045
; %bb.2006:
	s_cmp_gt_i32 s15, 22
	s_mov_b64 s[4:5], -1
	s_cbranch_scc0 .LBB18_2038
; %bb.2007:
	s_cmp_lt_i32 s15, 24
	s_cbranch_scc1 .LBB18_2027
; %bb.2008:
	s_cmp_gt_i32 s15, 24
	s_cbranch_scc0 .LBB18_2016
; %bb.2009:
	v_and_b32_e32 v2, 0x7fffffff, v1
	s_mov_b32 s4, 0x47800000
	v_cmp_gt_u32_e32 vcc, s4, v2
	v_mov_b32_e32 v5, 0x80
	s_and_saveexec_b64 s[4:5], vcc
	s_cbranch_execz .LBB18_2015
; %bb.2010:
	s_mov_b32 s6, 0x37ffffff
	v_cmp_lt_u32_e32 vcc, s6, v2
	s_mov_b64 s[6:7], 0
                                        ; implicit-def: $vgpr2
	s_and_saveexec_b64 s[10:11], vcc
	s_xor_b64 s[10:11], exec, s[10:11]
	s_cbranch_execz .LBB18_2182
; %bb.2011:
	v_bfe_u32 v2, v1, 21, 1
	s_mov_b32 s12, 0x88fffff
	v_add3_u32 v2, v1, v2, s12
	s_mov_b64 s[6:7], exec
	v_lshrrev_b32_e32 v2, 21, v2
	s_andn2_saveexec_b64 s[10:11], s[10:11]
	s_cbranch_execnz .LBB18_2183
.LBB18_2012:
	s_or_b64 exec, exec, s[10:11]
	v_mov_b32_e32 v5, 0
	s_and_saveexec_b64 s[10:11], s[6:7]
.LBB18_2013:
	v_lshrrev_b32_e32 v5, 24, v1
	s_movk_i32 s6, 0x80
	v_and_or_b32 v5, v5, s6, v2
.LBB18_2014:
	s_or_b64 exec, exec, s[10:11]
.LBB18_2015:
	s_or_b64 exec, exec, s[4:5]
	s_mov_b64 s[4:5], 0
	global_store_byte v[3:4], v5, off
.LBB18_2016:
	s_and_b64 vcc, exec, s[4:5]
	s_cbranch_vccz .LBB18_2026
; %bb.2017:
	v_and_b32_e32 v5, 0x7fffffff, v1
	s_mov_b32 s4, 0x43f00000
	v_cmp_gt_u32_e32 vcc, s4, v5
                                        ; implicit-def: $vgpr2
	s_and_saveexec_b64 s[4:5], vcc
	s_xor_b64 s[4:5], exec, s[4:5]
	s_cbranch_execz .LBB18_2023
; %bb.2018:
	s_mov_b32 s6, 0x3c7fffff
	v_cmp_lt_u32_e32 vcc, s6, v5
                                        ; implicit-def: $vgpr2
	s_and_saveexec_b64 s[6:7], vcc
	s_xor_b64 s[6:7], exec, s[6:7]
; %bb.2019:
	v_bfe_u32 v2, v1, 20, 1
	s_mov_b32 s10, 0x407ffff
	v_add3_u32 v2, v1, v2, s10
	v_lshrrev_b32_e32 v5, 20, v2
	v_and_b32_e32 v2, 0xff00000, v2
	s_mov_b32 s10, 0x7f00000
	v_mov_b32_e32 v6, 0x7e
	v_cmp_ne_u32_e32 vcc, s10, v2
	v_cndmask_b32_e32 v2, v6, v5, vcc
; %bb.2020:
	s_andn2_saveexec_b64 s[6:7], s[6:7]
; %bb.2021:
	s_mov_b32 s10, 0x46800000
	v_add_f32_e64 v2, |v1|, s10
; %bb.2022:
	s_or_b64 exec, exec, s[6:7]
                                        ; implicit-def: $vgpr5
.LBB18_2023:
	s_andn2_saveexec_b64 s[4:5], s[4:5]
; %bb.2024:
	s_mov_b32 s6, 0x7f800000
	v_mov_b32_e32 v2, 0x7e
	v_mov_b32_e32 v6, 0x7f
	v_cmp_lt_u32_e32 vcc, s6, v5
	v_cndmask_b32_e32 v2, v2, v6, vcc
; %bb.2025:
	s_or_b64 exec, exec, s[4:5]
	v_lshrrev_b32_e32 v5, 24, v1
	s_movk_i32 s4, 0x80
	v_and_or_b32 v2, v5, s4, v2
	global_store_byte v[3:4], v2, off
.LBB18_2026:
	s_mov_b64 s[4:5], 0
.LBB18_2027:
	s_andn2_b64 vcc, exec, s[4:5]
	s_cbranch_vccnz .LBB18_2037
; %bb.2028:
	v_and_b32_e32 v5, 0x7fffffff, v1
	s_mov_b32 s4, 0x47800000
	v_cmp_gt_u32_e32 vcc, s4, v5
                                        ; implicit-def: $vgpr2
	s_and_saveexec_b64 s[4:5], vcc
	s_xor_b64 s[4:5], exec, s[4:5]
	s_cbranch_execz .LBB18_2034
; %bb.2029:
	s_mov_b32 s6, 0x387fffff
	v_cmp_lt_u32_e32 vcc, s6, v5
                                        ; implicit-def: $vgpr2
	s_and_saveexec_b64 s[6:7], vcc
	s_xor_b64 s[6:7], exec, s[6:7]
; %bb.2030:
	v_bfe_u32 v2, v1, 21, 1
	s_mov_b32 s10, 0x80fffff
	v_add3_u32 v2, v1, v2, s10
	v_lshrrev_b32_e32 v2, 21, v2
; %bb.2031:
	s_andn2_saveexec_b64 s[6:7], s[6:7]
; %bb.2032:
	s_mov_b32 s10, 0x43000000
	v_add_f32_e64 v2, |v1|, s10
; %bb.2033:
	s_or_b64 exec, exec, s[6:7]
                                        ; implicit-def: $vgpr5
.LBB18_2034:
	s_andn2_saveexec_b64 s[4:5], s[4:5]
; %bb.2035:
	s_mov_b32 s6, 0x7f800000
	v_mov_b32_e32 v2, 0x7c
	v_mov_b32_e32 v6, 0x7f
	v_cmp_lt_u32_e32 vcc, s6, v5
	v_cndmask_b32_e32 v2, v2, v6, vcc
; %bb.2036:
	s_or_b64 exec, exec, s[4:5]
	v_lshrrev_b32_e32 v5, 24, v1
	s_movk_i32 s4, 0x80
	v_and_or_b32 v2, v5, s4, v2
	global_store_byte v[3:4], v2, off
.LBB18_2037:
	s_mov_b64 s[4:5], 0
	s_mov_b64 s[6:7], -1
.LBB18_2038:
	s_andn2_b64 vcc, exec, s[4:5]
	s_mov_b64 s[4:5], 0
	s_cbranch_vccnz .LBB18_2045
; %bb.2039:
	s_cmp_gt_i32 s15, 14
	s_mov_b64 s[10:11], -1
	s_cbranch_scc0 .LBB18_2043
; %bb.2040:
	s_cmp_eq_u32 s15, 15
	s_mov_b64 s[0:1], -1
	s_cbranch_scc0 .LBB18_2042
; %bb.2041:
	v_bfe_u32 v2, v1, 16, 1
	s_movk_i32 s0, 0x7fff
	v_add3_u32 v2, v1, v2, s0
	v_cmp_o_f32_e32 vcc, v1, v1
	v_mov_b32_e32 v5, 0x7fc0
	v_cndmask_b32_sdwa v2, v5, v2, vcc dst_sel:DWORD dst_unused:UNUSED_PAD src0_sel:DWORD src1_sel:WORD_1
	global_store_short v[3:4], v2, off
	s_mov_b64 s[0:1], 0
	s_mov_b64 s[6:7], -1
.LBB18_2042:
	s_mov_b64 s[10:11], 0
.LBB18_2043:
	s_and_b64 vcc, exec, s[10:11]
	s_cbranch_vccz .LBB18_2045
; %bb.2044:
	s_cmp_lg_u32 s15, 11
	s_mov_b64 s[4:5], -1
	s_cselect_b64 s[0:1], -1, 0
.LBB18_2045:
	s_and_b64 vcc, exec, s[0:1]
	s_cbranch_vccnz .LBB18_2181
; %bb.2046:
	s_andn2_b64 vcc, exec, s[4:5]
	s_cbranch_vccnz .LBB18_2048
.LBB18_2047:
	v_cmp_neq_f32_e32 vcc, 0, v1
	v_cndmask_b32_e64 v2, 0, 1, vcc
	s_mov_b64 s[6:7], -1
	global_store_byte v[3:4], v2, off
.LBB18_2048:
	s_mov_b64 s[0:1], 0
	s_branch .LBB18_2050
.LBB18_2049:
	s_mov_b64 s[0:1], -1
	s_mov_b64 s[6:7], 0
.LBB18_2050:
	s_and_b64 vcc, exec, s[0:1]
	s_cbranch_vccz .LBB18_2089
; %bb.2051:
	s_and_b32 s4, 0xffff, s14
	s_cmp_lt_i32 s4, 5
	s_mov_b64 s[0:1], -1
	s_cbranch_scc1 .LBB18_2072
; %bb.2052:
	s_cmp_lt_i32 s4, 8
	s_cbranch_scc1 .LBB18_2062
; %bb.2053:
	s_cmp_lt_i32 s4, 9
	s_cbranch_scc1 .LBB18_2059
; %bb.2054:
	s_cmp_gt_i32 s4, 9
	s_cbranch_scc0 .LBB18_2056
; %bb.2055:
	v_cvt_f64_f32_e32 v[8:9], v1
	v_mov_b32_e32 v10, 0
	v_mov_b32_e32 v11, v10
	s_mov_b64 s[0:1], 0
	global_store_dwordx4 v[3:4], v[8:11], off
.LBB18_2056:
	s_andn2_b64 vcc, exec, s[0:1]
	s_cbranch_vccnz .LBB18_2058
; %bb.2057:
	v_mov_b32_e32 v2, 0
	global_store_dwordx2 v[3:4], v[1:2], off
.LBB18_2058:
	s_mov_b64 s[0:1], 0
.LBB18_2059:
	s_andn2_b64 vcc, exec, s[0:1]
	s_cbranch_vccnz .LBB18_2061
; %bb.2060:
	v_cvt_f16_f32_e32 v2, v1
	global_store_dword v[3:4], v2, off
.LBB18_2061:
	s_mov_b64 s[0:1], 0
.LBB18_2062:
	s_andn2_b64 vcc, exec, s[0:1]
	s_cbranch_vccnz .LBB18_2071
; %bb.2063:
	s_cmp_lt_i32 s4, 6
	s_mov_b64 s[0:1], -1
	s_cbranch_scc1 .LBB18_2069
; %bb.2064:
	s_cmp_gt_i32 s4, 6
	s_cbranch_scc0 .LBB18_2066
; %bb.2065:
	v_cvt_f64_f32_e32 v[5:6], v1
	s_mov_b64 s[0:1], 0
	global_store_dwordx2 v[3:4], v[5:6], off
.LBB18_2066:
	s_andn2_b64 vcc, exec, s[0:1]
	s_cbranch_vccnz .LBB18_2068
; %bb.2067:
	global_store_dword v[3:4], v1, off
.LBB18_2068:
	s_mov_b64 s[0:1], 0
.LBB18_2069:
	s_andn2_b64 vcc, exec, s[0:1]
	s_cbranch_vccnz .LBB18_2071
; %bb.2070:
	v_cvt_f16_f32_e32 v2, v1
	global_store_short v[3:4], v2, off
.LBB18_2071:
	s_mov_b64 s[0:1], 0
.LBB18_2072:
	s_andn2_b64 vcc, exec, s[0:1]
	s_cbranch_vccnz .LBB18_2088
; %bb.2073:
	s_cmp_lt_i32 s4, 2
	s_mov_b64 s[0:1], -1
	s_cbranch_scc1 .LBB18_2083
; %bb.2074:
	s_cmp_lt_i32 s4, 3
	s_cbranch_scc1 .LBB18_2080
; %bb.2075:
	s_cmp_gt_i32 s4, 3
	s_cbranch_scc0 .LBB18_2077
; %bb.2076:
	v_trunc_f32_e32 v2, v1
	s_mov_b32 s0, 0x2f800000
	v_mul_f32_e64 v5, |v2|, s0
	v_floor_f32_e32 v5, v5
	s_mov_b32 s0, 0xcf800000
	v_cvt_u32_f32_e32 v6, v5
	v_fma_f32 v5, v5, s0, |v2|
	v_cvt_u32_f32_e32 v5, v5
	v_ashrrev_i32_e32 v2, 31, v2
	v_xor_b32_e32 v6, v6, v2
	s_mov_b64 s[0:1], 0
	v_xor_b32_e32 v5, v5, v2
	v_sub_co_u32_e32 v5, vcc, v5, v2
	v_subb_co_u32_e32 v6, vcc, v6, v2, vcc
	global_store_dwordx2 v[3:4], v[5:6], off
.LBB18_2077:
	s_andn2_b64 vcc, exec, s[0:1]
	s_cbranch_vccnz .LBB18_2079
; %bb.2078:
	v_cvt_i32_f32_e32 v2, v1
	global_store_dword v[3:4], v2, off
.LBB18_2079:
	s_mov_b64 s[0:1], 0
.LBB18_2080:
	s_andn2_b64 vcc, exec, s[0:1]
	s_cbranch_vccnz .LBB18_2082
; %bb.2081:
	v_cvt_i32_f32_e32 v2, v1
	global_store_short v[3:4], v2, off
.LBB18_2082:
	s_mov_b64 s[0:1], 0
.LBB18_2083:
	s_andn2_b64 vcc, exec, s[0:1]
	s_cbranch_vccnz .LBB18_2088
; %bb.2084:
	s_cmp_gt_i32 s4, 0
	s_mov_b64 s[0:1], -1
	s_cbranch_scc0 .LBB18_2086
; %bb.2085:
	v_cvt_i32_f32_e32 v2, v1
	s_mov_b64 s[0:1], 0
	global_store_byte v[3:4], v2, off
.LBB18_2086:
	s_andn2_b64 vcc, exec, s[0:1]
	s_cbranch_vccnz .LBB18_2088
; %bb.2087:
	v_trunc_f32_e32 v1, v1
	s_mov_b32 s0, 0x2f800000
	v_mul_f32_e64 v2, |v1|, s0
	v_floor_f32_e32 v2, v2
	s_mov_b32 s0, 0xcf800000
	v_fma_f32 v2, v2, s0, |v1|
	v_cvt_u32_f32_e32 v2, v2
	v_ashrrev_i32_e32 v1, 31, v1
	v_xor_b32_e32 v2, v2, v1
	v_sub_u32_e32 v1, v2, v1
	global_store_byte v[3:4], v1, off
.LBB18_2088:
	s_mov_b64 s[6:7], -1
.LBB18_2089:
	s_andn2_b64 vcc, exec, s[6:7]
	s_cbranch_vccnz .LBB18_2166
; %bb.2090:
	v_mov_b32_e32 v1, s9
	v_add_co_u32_e32 v0, vcc, s8, v0
	s_cmp_lt_i32 s14, 11
	v_addc_co_u32_e32 v1, vcc, 0, v1, vcc
	s_cbranch_scc1 .LBB18_2167
; %bb.2091:
	s_and_b32 s12, 0xffff, s14
	s_mov_b64 s[6:7], -1
	s_mov_b64 s[4:5], 0
	s_cmp_gt_i32 s12, 25
	s_mov_b64 s[0:1], 0
	s_cbranch_scc0 .LBB18_2124
; %bb.2092:
	s_cmp_gt_i32 s12, 28
	s_cbranch_scc0 .LBB18_2108
; %bb.2093:
	s_cmp_gt_i32 s12, 43
	;; [unrolled: 3-line block ×3, first 2 shown]
	s_cbranch_scc0 .LBB18_2098
; %bb.2095:
	s_cmp_eq_u32 s12, 46
	s_mov_b64 s[0:1], -1
	s_cbranch_scc0 .LBB18_2097
; %bb.2096:
	v_bfe_u32 v2, v7, 16, 1
	s_movk_i32 s0, 0x7fff
	v_add3_u32 v2, v7, v2, s0
	v_cmp_o_f32_e32 vcc, v7, v7
	v_mov_b32_e32 v3, 0x7fc0
	v_cndmask_b32_sdwa v2, v3, v2, vcc dst_sel:DWORD dst_unused:UNUSED_PAD src0_sel:DWORD src1_sel:WORD_1
	global_store_dword v[0:1], v2, off
	s_mov_b64 s[0:1], 0
.LBB18_2097:
	s_mov_b64 s[6:7], 0
.LBB18_2098:
	s_and_b64 vcc, exec, s[6:7]
	s_cbranch_vccz .LBB18_2103
; %bb.2099:
	s_cmp_eq_u32 s12, 44
	s_mov_b64 s[0:1], -1
	s_cbranch_scc0 .LBB18_2103
; %bb.2100:
	v_bfe_u32 v2, v7, 23, 8
	s_movk_i32 s0, 0xff
	v_cmp_ne_u32_e32 vcc, s0, v2
	v_mov_b32_e32 v3, 0xff
	s_and_saveexec_b64 s[6:7], vcc
; %bb.2101:
	s_mov_b32 s0, 0x3fffff
	v_and_b32_e32 v4, 0x400000, v7
	v_and_or_b32 v2, v7, s0, v2
	v_cmp_ne_u32_e32 vcc, 0, v4
	v_cmp_ne_u32_e64 s[0:1], 0, v2
	s_and_b64 s[0:1], vcc, s[0:1]
	v_lshrrev_b32_e32 v3, 23, v7
	v_cndmask_b32_e64 v2, 0, 1, s[0:1]
	v_add_u32_e32 v3, v3, v2
; %bb.2102:
	s_or_b64 exec, exec, s[6:7]
	s_mov_b64 s[0:1], 0
	global_store_byte v[0:1], v3, off
.LBB18_2103:
	s_mov_b64 s[6:7], 0
.LBB18_2104:
	s_and_b64 vcc, exec, s[6:7]
	s_cbranch_vccz .LBB18_2107
; %bb.2105:
	s_cmp_eq_u32 s12, 29
	s_mov_b64 s[0:1], -1
	s_cbranch_scc0 .LBB18_2107
; %bb.2106:
	v_trunc_f32_e32 v2, v7
	v_mul_f32_e32 v3, 0x2f800000, v2
	v_floor_f32_e32 v4, v3
	v_fmac_f32_e32 v2, 0xcf800000, v4
	v_cvt_u32_f32_e32 v3, v4
	v_cvt_u32_f32_e32 v2, v2
	s_mov_b64 s[0:1], 0
	global_store_dwordx2 v[0:1], v[2:3], off
.LBB18_2107:
	s_mov_b64 s[6:7], 0
.LBB18_2108:
	s_and_b64 vcc, exec, s[6:7]
	s_cbranch_vccz .LBB18_2123
; %bb.2109:
	s_cmp_lt_i32 s12, 27
	s_mov_b64 s[6:7], -1
	s_cbranch_scc1 .LBB18_2115
; %bb.2110:
	s_cmp_gt_i32 s12, 27
	s_cbranch_scc0 .LBB18_2112
; %bb.2111:
	v_cvt_u32_f32_e32 v2, v7
	s_mov_b64 s[6:7], 0
	global_store_dword v[0:1], v2, off
.LBB18_2112:
	s_andn2_b64 vcc, exec, s[6:7]
	s_cbranch_vccnz .LBB18_2114
; %bb.2113:
	v_cvt_u32_f32_e32 v2, v7
	global_store_short v[0:1], v2, off
.LBB18_2114:
	s_mov_b64 s[6:7], 0
.LBB18_2115:
	s_andn2_b64 vcc, exec, s[6:7]
	s_cbranch_vccnz .LBB18_2123
; %bb.2116:
	v_and_b32_e32 v2, 0x7fffffff, v7
	s_mov_b32 s6, 0x43800000
	v_cmp_gt_u32_e32 vcc, s6, v2
	v_mov_b32_e32 v3, 0x80
	s_and_saveexec_b64 s[6:7], vcc
	s_cbranch_execz .LBB18_2122
; %bb.2117:
	s_mov_b32 s8, 0x3bffffff
	v_cmp_lt_u32_e32 vcc, s8, v2
	s_mov_b64 s[8:9], 0
                                        ; implicit-def: $vgpr2
	s_and_saveexec_b64 s[10:11], vcc
	s_xor_b64 s[10:11], exec, s[10:11]
	s_cbranch_execz .LBB18_2184
; %bb.2118:
	v_bfe_u32 v2, v7, 20, 1
	s_mov_b32 s13, 0x487ffff
	v_add3_u32 v2, v7, v2, s13
	s_mov_b64 s[8:9], exec
	v_lshrrev_b32_e32 v2, 20, v2
	s_andn2_saveexec_b64 s[10:11], s[10:11]
	s_cbranch_execnz .LBB18_2185
.LBB18_2119:
	s_or_b64 exec, exec, s[10:11]
	v_mov_b32_e32 v3, 0
	s_and_saveexec_b64 s[10:11], s[8:9]
.LBB18_2120:
	v_lshrrev_b32_e32 v3, 24, v7
	s_movk_i32 s8, 0x80
	v_and_or_b32 v3, v3, s8, v2
.LBB18_2121:
	s_or_b64 exec, exec, s[10:11]
.LBB18_2122:
	s_or_b64 exec, exec, s[6:7]
	global_store_byte v[0:1], v3, off
.LBB18_2123:
	s_mov_b64 s[6:7], 0
.LBB18_2124:
	s_and_b64 vcc, exec, s[6:7]
	s_cbranch_vccz .LBB18_2164
; %bb.2125:
	s_cmp_gt_i32 s12, 22
	s_mov_b64 s[4:5], -1
	s_cbranch_scc0 .LBB18_2157
; %bb.2126:
	s_cmp_lt_i32 s12, 24
	s_cbranch_scc1 .LBB18_2146
; %bb.2127:
	s_cmp_gt_i32 s12, 24
	s_cbranch_scc0 .LBB18_2135
; %bb.2128:
	v_and_b32_e32 v2, 0x7fffffff, v7
	s_mov_b32 s4, 0x47800000
	v_cmp_gt_u32_e32 vcc, s4, v2
	v_mov_b32_e32 v3, 0x80
	s_and_saveexec_b64 s[4:5], vcc
	s_cbranch_execz .LBB18_2134
; %bb.2129:
	s_mov_b32 s6, 0x37ffffff
	v_cmp_lt_u32_e32 vcc, s6, v2
	s_mov_b64 s[6:7], 0
                                        ; implicit-def: $vgpr2
	s_and_saveexec_b64 s[8:9], vcc
	s_xor_b64 s[8:9], exec, s[8:9]
	s_cbranch_execz .LBB18_2187
; %bb.2130:
	v_bfe_u32 v2, v7, 21, 1
	s_mov_b32 s10, 0x88fffff
	v_add3_u32 v2, v7, v2, s10
	s_mov_b64 s[6:7], exec
	v_lshrrev_b32_e32 v2, 21, v2
	s_andn2_saveexec_b64 s[8:9], s[8:9]
	s_cbranch_execnz .LBB18_2188
.LBB18_2131:
	s_or_b64 exec, exec, s[8:9]
	v_mov_b32_e32 v3, 0
	s_and_saveexec_b64 s[8:9], s[6:7]
.LBB18_2132:
	v_lshrrev_b32_e32 v3, 24, v7
	s_movk_i32 s6, 0x80
	v_and_or_b32 v3, v3, s6, v2
.LBB18_2133:
	s_or_b64 exec, exec, s[8:9]
.LBB18_2134:
	s_or_b64 exec, exec, s[4:5]
	s_mov_b64 s[4:5], 0
	global_store_byte v[0:1], v3, off
.LBB18_2135:
	s_and_b64 vcc, exec, s[4:5]
	s_cbranch_vccz .LBB18_2145
; %bb.2136:
	v_and_b32_e32 v3, 0x7fffffff, v7
	s_mov_b32 s4, 0x43f00000
	v_cmp_gt_u32_e32 vcc, s4, v3
                                        ; implicit-def: $vgpr2
	s_and_saveexec_b64 s[4:5], vcc
	s_xor_b64 s[4:5], exec, s[4:5]
	s_cbranch_execz .LBB18_2142
; %bb.2137:
	s_mov_b32 s6, 0x3c7fffff
	v_cmp_lt_u32_e32 vcc, s6, v3
                                        ; implicit-def: $vgpr2
	s_and_saveexec_b64 s[6:7], vcc
	s_xor_b64 s[6:7], exec, s[6:7]
; %bb.2138:
	v_bfe_u32 v2, v7, 20, 1
	s_mov_b32 s8, 0x407ffff
	v_add3_u32 v2, v7, v2, s8
	v_lshrrev_b32_e32 v3, 20, v2
	v_and_b32_e32 v2, 0xff00000, v2
	s_mov_b32 s8, 0x7f00000
	v_mov_b32_e32 v4, 0x7e
	v_cmp_ne_u32_e32 vcc, s8, v2
	v_cndmask_b32_e32 v2, v4, v3, vcc
; %bb.2139:
	s_andn2_saveexec_b64 s[6:7], s[6:7]
; %bb.2140:
	s_mov_b32 s8, 0x46800000
	v_add_f32_e64 v2, |v7|, s8
; %bb.2141:
	s_or_b64 exec, exec, s[6:7]
                                        ; implicit-def: $vgpr3
.LBB18_2142:
	s_andn2_saveexec_b64 s[4:5], s[4:5]
; %bb.2143:
	s_mov_b32 s6, 0x7f800000
	v_mov_b32_e32 v2, 0x7e
	v_mov_b32_e32 v4, 0x7f
	v_cmp_lt_u32_e32 vcc, s6, v3
	v_cndmask_b32_e32 v2, v2, v4, vcc
; %bb.2144:
	s_or_b64 exec, exec, s[4:5]
	v_lshrrev_b32_e32 v3, 24, v7
	s_movk_i32 s4, 0x80
	v_and_or_b32 v2, v3, s4, v2
	global_store_byte v[0:1], v2, off
.LBB18_2145:
	s_mov_b64 s[4:5], 0
.LBB18_2146:
	s_andn2_b64 vcc, exec, s[4:5]
	s_cbranch_vccnz .LBB18_2156
; %bb.2147:
	v_and_b32_e32 v3, 0x7fffffff, v7
	s_mov_b32 s4, 0x47800000
	v_cmp_gt_u32_e32 vcc, s4, v3
                                        ; implicit-def: $vgpr2
	s_and_saveexec_b64 s[4:5], vcc
	s_xor_b64 s[4:5], exec, s[4:5]
	s_cbranch_execz .LBB18_2153
; %bb.2148:
	s_mov_b32 s6, 0x387fffff
	v_cmp_lt_u32_e32 vcc, s6, v3
                                        ; implicit-def: $vgpr2
	s_and_saveexec_b64 s[6:7], vcc
	s_xor_b64 s[6:7], exec, s[6:7]
; %bb.2149:
	v_bfe_u32 v2, v7, 21, 1
	s_mov_b32 s8, 0x80fffff
	v_add3_u32 v2, v7, v2, s8
	v_lshrrev_b32_e32 v2, 21, v2
; %bb.2150:
	s_andn2_saveexec_b64 s[6:7], s[6:7]
; %bb.2151:
	s_mov_b32 s8, 0x43000000
	v_add_f32_e64 v2, |v7|, s8
; %bb.2152:
	s_or_b64 exec, exec, s[6:7]
                                        ; implicit-def: $vgpr3
.LBB18_2153:
	s_andn2_saveexec_b64 s[4:5], s[4:5]
; %bb.2154:
	s_mov_b32 s6, 0x7f800000
	v_mov_b32_e32 v2, 0x7c
	v_mov_b32_e32 v4, 0x7f
	v_cmp_lt_u32_e32 vcc, s6, v3
	v_cndmask_b32_e32 v2, v2, v4, vcc
; %bb.2155:
	s_or_b64 exec, exec, s[4:5]
	v_lshrrev_b32_e32 v3, 24, v7
	s_movk_i32 s4, 0x80
	v_and_or_b32 v2, v3, s4, v2
	global_store_byte v[0:1], v2, off
.LBB18_2156:
	s_mov_b64 s[4:5], 0
.LBB18_2157:
	s_andn2_b64 vcc, exec, s[4:5]
	s_mov_b64 s[4:5], 0
	s_cbranch_vccnz .LBB18_2164
; %bb.2158:
	s_cmp_gt_i32 s12, 14
	s_mov_b64 s[6:7], -1
	s_cbranch_scc0 .LBB18_2162
; %bb.2159:
	s_cmp_eq_u32 s12, 15
	s_mov_b64 s[0:1], -1
	s_cbranch_scc0 .LBB18_2161
; %bb.2160:
	v_bfe_u32 v2, v7, 16, 1
	s_movk_i32 s0, 0x7fff
	v_add3_u32 v2, v7, v2, s0
	v_cmp_o_f32_e32 vcc, v7, v7
	v_mov_b32_e32 v3, 0x7fc0
	v_cndmask_b32_sdwa v2, v3, v2, vcc dst_sel:DWORD dst_unused:UNUSED_PAD src0_sel:DWORD src1_sel:WORD_1
	global_store_short v[0:1], v2, off
	s_mov_b64 s[0:1], 0
.LBB18_2161:
	s_mov_b64 s[6:7], 0
.LBB18_2162:
	s_and_b64 vcc, exec, s[6:7]
	s_cbranch_vccz .LBB18_2164
; %bb.2163:
	s_cmp_lg_u32 s12, 11
	s_mov_b64 s[4:5], -1
	s_cselect_b64 s[0:1], -1, 0
.LBB18_2164:
	s_and_b64 vcc, exec, s[0:1]
	s_cbranch_vccnz .LBB18_2186
.LBB18_2165:
	s_mov_b64 s[0:1], 0
	s_branch .LBB18_1767
.LBB18_2166:
	s_mov_b64 s[0:1], 0
                                        ; implicit-def: $vgpr0_vgpr1
                                        ; implicit-def: $sgpr14
	s_branch .LBB18_1766
.LBB18_2167:
	s_mov_b64 s[4:5], 0
	s_mov_b64 s[0:1], -1
	s_branch .LBB18_1767
.LBB18_2168:
	s_trap 2
	s_or_b64 s[2:3], s[2:3], exec
	s_cbranch_execz .LBB18_1631
	s_branch .LBB18_1632
.LBB18_2169:
	s_andn2_saveexec_b64 s[12:13], s[12:13]
	s_cbranch_execz .LBB18_1715
.LBB18_2170:
	s_mov_b32 s17, 0x46000000
	v_add_f32_e64 v6, |v5|, s17
	v_and_b32_e32 v6, 0xff, v6
	v_cmp_ne_u32_e32 vcc, 0, v6
	s_andn2_b64 s[10:11], s[10:11], exec
	s_and_b64 s[18:19], vcc, exec
	s_or_b64 s[10:11], s[10:11], s[18:19]
	s_or_b64 exec, exec, s[12:13]
	v_mov_b32_e32 v10, 0
	s_and_saveexec_b64 s[12:13], s[10:11]
	s_cbranch_execnz .LBB18_1716
	s_branch .LBB18_1717
.LBB18_2171:
	s_trap 2
	s_or_b64 s[2:3], s[2:3], exec
	s_cbranch_execz .LBB18_1763
	s_branch .LBB18_1764
.LBB18_2172:
	s_andn2_saveexec_b64 s[10:11], s[10:11]
	s_cbranch_execz .LBB18_1728
.LBB18_2173:
	s_mov_b32 s12, 0x42800000
	v_add_f32_e64 v6, |v5|, s12
	v_and_b32_e32 v6, 0xff, v6
	v_cmp_ne_u32_e32 vcc, 0, v6
	s_andn2_b64 s[6:7], s[6:7], exec
	s_and_b64 s[12:13], vcc, exec
	s_or_b64 s[6:7], s[6:7], s[12:13]
	s_or_b64 exec, exec, s[10:11]
	v_mov_b32_e32 v10, 0
	s_and_saveexec_b64 s[10:11], s[6:7]
	s_cbranch_execnz .LBB18_1729
	s_branch .LBB18_1730
.LBB18_2174:
	s_andn2_saveexec_b64 s[12:13], s[12:13]
	s_cbranch_execz .LBB18_1880
.LBB18_2175:
	s_mov_b32 s16, 0x46000000
	v_add_f32_e64 v4, |v3|, s16
	v_and_b32_e32 v4, 0xff, v4
	v_cmp_ne_u32_e32 vcc, 0, v4
	s_andn2_b64 s[10:11], s[10:11], exec
	s_and_b64 s[16:17], vcc, exec
	s_or_b64 s[10:11], s[10:11], s[16:17]
	s_or_b64 exec, exec, s[12:13]
	v_mov_b32_e32 v8, 0
	s_and_saveexec_b64 s[12:13], s[10:11]
	s_cbranch_execnz .LBB18_1881
	s_branch .LBB18_1882
.LBB18_2176:
	s_trap 2
	s_or_b64 s[2:3], s[2:3], exec
	s_cbranch_execz .LBB18_1928
	s_branch .LBB18_1929
.LBB18_2177:
	s_andn2_saveexec_b64 s[10:11], s[10:11]
	s_cbranch_execz .LBB18_1893
.LBB18_2178:
	s_mov_b32 s12, 0x42800000
	v_add_f32_e64 v4, |v3|, s12
	v_and_b32_e32 v4, 0xff, v4
	v_cmp_ne_u32_e32 vcc, 0, v4
	s_andn2_b64 s[6:7], s[6:7], exec
	s_and_b64 s[12:13], vcc, exec
	s_or_b64 s[6:7], s[6:7], s[12:13]
	s_or_b64 exec, exec, s[10:11]
	v_mov_b32_e32 v8, 0
	s_and_saveexec_b64 s[10:11], s[6:7]
	s_cbranch_execnz .LBB18_1894
	s_branch .LBB18_1895
.LBB18_2179:
	s_andn2_saveexec_b64 s[12:13], s[12:13]
	s_cbranch_execz .LBB18_1999
.LBB18_2180:
	s_mov_b32 s16, 0x46000000
	v_add_f32_e64 v2, |v1|, s16
	v_and_b32_e32 v2, 0xff, v2
	v_cmp_ne_u32_e32 vcc, 0, v2
	s_andn2_b64 s[10:11], s[10:11], exec
	s_and_b64 s[16:17], vcc, exec
	s_or_b64 s[10:11], s[10:11], s[16:17]
	s_or_b64 exec, exec, s[12:13]
	v_mov_b32_e32 v5, 0
	s_and_saveexec_b64 s[12:13], s[10:11]
	s_cbranch_execnz .LBB18_2000
	s_branch .LBB18_2001
.LBB18_2181:
	s_trap 2
	s_or_b64 s[2:3], s[2:3], exec
	s_cbranch_execz .LBB18_2047
	s_branch .LBB18_2048
.LBB18_2182:
	s_andn2_saveexec_b64 s[10:11], s[10:11]
	s_cbranch_execz .LBB18_2012
.LBB18_2183:
	s_mov_b32 s12, 0x42800000
	v_add_f32_e64 v2, |v1|, s12
	v_and_b32_e32 v2, 0xff, v2
	v_cmp_ne_u32_e32 vcc, 0, v2
	s_andn2_b64 s[6:7], s[6:7], exec
	s_and_b64 s[12:13], vcc, exec
	s_or_b64 s[6:7], s[6:7], s[12:13]
	s_or_b64 exec, exec, s[10:11]
	v_mov_b32_e32 v5, 0
	s_and_saveexec_b64 s[10:11], s[6:7]
	s_cbranch_execnz .LBB18_2013
	s_branch .LBB18_2014
.LBB18_2184:
	s_andn2_saveexec_b64 s[10:11], s[10:11]
	s_cbranch_execz .LBB18_2119
.LBB18_2185:
	s_mov_b32 s13, 0x46000000
	v_add_f32_e64 v2, |v7|, s13
	v_and_b32_e32 v2, 0xff, v2
	v_cmp_ne_u32_e32 vcc, 0, v2
	s_andn2_b64 s[8:9], s[8:9], exec
	s_and_b64 s[16:17], vcc, exec
	s_or_b64 s[8:9], s[8:9], s[16:17]
	s_or_b64 exec, exec, s[10:11]
	v_mov_b32_e32 v3, 0
	s_and_saveexec_b64 s[10:11], s[8:9]
	s_cbranch_execnz .LBB18_2120
	s_branch .LBB18_2121
.LBB18_2186:
	s_mov_b64 s[4:5], 0
	s_or_b64 s[2:3], s[2:3], exec
	s_trap 2
	s_branch .LBB18_2165
.LBB18_2187:
	s_andn2_saveexec_b64 s[8:9], s[8:9]
	s_cbranch_execz .LBB18_2131
.LBB18_2188:
	s_mov_b32 s10, 0x42800000
	v_add_f32_e64 v2, |v7|, s10
	v_and_b32_e32 v2, 0xff, v2
	v_cmp_ne_u32_e32 vcc, 0, v2
	s_andn2_b64 s[6:7], s[6:7], exec
	s_and_b64 s[10:11], vcc, exec
	s_or_b64 s[6:7], s[6:7], s[10:11]
	s_or_b64 exec, exec, s[8:9]
	v_mov_b32_e32 v3, 0
	s_and_saveexec_b64 s[8:9], s[6:7]
	s_cbranch_execnz .LBB18_2132
	s_branch .LBB18_2133
	.section	.rodata,"a",@progbits
	.p2align	6, 0x0
	.amdhsa_kernel _ZN2at6native32elementwise_kernel_manual_unrollILi128ELi4EZNS0_15gpu_kernel_implIZZZNS0_12_GLOBAL__N_130modified_bessel_i0_kernel_cudaERNS_18TensorIteratorBaseEENKUlvE_clEvENKUlvE0_clEvEUlfE_EEvS5_RKT_EUlibE0_EEviT1_
		.amdhsa_group_segment_fixed_size 0
		.amdhsa_private_segment_fixed_size 0
		.amdhsa_kernarg_size 360
		.amdhsa_user_sgpr_count 6
		.amdhsa_user_sgpr_private_segment_buffer 1
		.amdhsa_user_sgpr_dispatch_ptr 0
		.amdhsa_user_sgpr_queue_ptr 0
		.amdhsa_user_sgpr_kernarg_segment_ptr 1
		.amdhsa_user_sgpr_dispatch_id 0
		.amdhsa_user_sgpr_flat_scratch_init 0
		.amdhsa_user_sgpr_private_segment_size 0
		.amdhsa_uses_dynamic_stack 0
		.amdhsa_system_sgpr_private_segment_wavefront_offset 0
		.amdhsa_system_sgpr_workgroup_id_x 1
		.amdhsa_system_sgpr_workgroup_id_y 0
		.amdhsa_system_sgpr_workgroup_id_z 0
		.amdhsa_system_sgpr_workgroup_info 0
		.amdhsa_system_vgpr_workitem_id 0
		.amdhsa_next_free_vgpr 19
		.amdhsa_next_free_sgpr 78
		.amdhsa_reserve_vcc 1
		.amdhsa_reserve_flat_scratch 0
		.amdhsa_float_round_mode_32 0
		.amdhsa_float_round_mode_16_64 0
		.amdhsa_float_denorm_mode_32 3
		.amdhsa_float_denorm_mode_16_64 3
		.amdhsa_dx10_clamp 1
		.amdhsa_ieee_mode 1
		.amdhsa_fp16_overflow 0
		.amdhsa_exception_fp_ieee_invalid_op 0
		.amdhsa_exception_fp_denorm_src 0
		.amdhsa_exception_fp_ieee_div_zero 0
		.amdhsa_exception_fp_ieee_overflow 0
		.amdhsa_exception_fp_ieee_underflow 0
		.amdhsa_exception_fp_ieee_inexact 0
		.amdhsa_exception_int_div_zero 0
	.end_amdhsa_kernel
	.section	.text._ZN2at6native32elementwise_kernel_manual_unrollILi128ELi4EZNS0_15gpu_kernel_implIZZZNS0_12_GLOBAL__N_130modified_bessel_i0_kernel_cudaERNS_18TensorIteratorBaseEENKUlvE_clEvENKUlvE0_clEvEUlfE_EEvS5_RKT_EUlibE0_EEviT1_,"axG",@progbits,_ZN2at6native32elementwise_kernel_manual_unrollILi128ELi4EZNS0_15gpu_kernel_implIZZZNS0_12_GLOBAL__N_130modified_bessel_i0_kernel_cudaERNS_18TensorIteratorBaseEENKUlvE_clEvENKUlvE0_clEvEUlfE_EEvS5_RKT_EUlibE0_EEviT1_,comdat
.Lfunc_end18:
	.size	_ZN2at6native32elementwise_kernel_manual_unrollILi128ELi4EZNS0_15gpu_kernel_implIZZZNS0_12_GLOBAL__N_130modified_bessel_i0_kernel_cudaERNS_18TensorIteratorBaseEENKUlvE_clEvENKUlvE0_clEvEUlfE_EEvS5_RKT_EUlibE0_EEviT1_, .Lfunc_end18-_ZN2at6native32elementwise_kernel_manual_unrollILi128ELi4EZNS0_15gpu_kernel_implIZZZNS0_12_GLOBAL__N_130modified_bessel_i0_kernel_cudaERNS_18TensorIteratorBaseEENKUlvE_clEvENKUlvE0_clEvEUlfE_EEvS5_RKT_EUlibE0_EEviT1_
                                        ; -- End function
	.set _ZN2at6native32elementwise_kernel_manual_unrollILi128ELi4EZNS0_15gpu_kernel_implIZZZNS0_12_GLOBAL__N_130modified_bessel_i0_kernel_cudaERNS_18TensorIteratorBaseEENKUlvE_clEvENKUlvE0_clEvEUlfE_EEvS5_RKT_EUlibE0_EEviT1_.num_vgpr, 19
	.set _ZN2at6native32elementwise_kernel_manual_unrollILi128ELi4EZNS0_15gpu_kernel_implIZZZNS0_12_GLOBAL__N_130modified_bessel_i0_kernel_cudaERNS_18TensorIteratorBaseEENKUlvE_clEvENKUlvE0_clEvEUlfE_EEvS5_RKT_EUlibE0_EEviT1_.num_agpr, 0
	.set _ZN2at6native32elementwise_kernel_manual_unrollILi128ELi4EZNS0_15gpu_kernel_implIZZZNS0_12_GLOBAL__N_130modified_bessel_i0_kernel_cudaERNS_18TensorIteratorBaseEENKUlvE_clEvENKUlvE0_clEvEUlfE_EEvS5_RKT_EUlibE0_EEviT1_.numbered_sgpr, 78
	.set _ZN2at6native32elementwise_kernel_manual_unrollILi128ELi4EZNS0_15gpu_kernel_implIZZZNS0_12_GLOBAL__N_130modified_bessel_i0_kernel_cudaERNS_18TensorIteratorBaseEENKUlvE_clEvENKUlvE0_clEvEUlfE_EEvS5_RKT_EUlibE0_EEviT1_.num_named_barrier, 0
	.set _ZN2at6native32elementwise_kernel_manual_unrollILi128ELi4EZNS0_15gpu_kernel_implIZZZNS0_12_GLOBAL__N_130modified_bessel_i0_kernel_cudaERNS_18TensorIteratorBaseEENKUlvE_clEvENKUlvE0_clEvEUlfE_EEvS5_RKT_EUlibE0_EEviT1_.private_seg_size, 0
	.set _ZN2at6native32elementwise_kernel_manual_unrollILi128ELi4EZNS0_15gpu_kernel_implIZZZNS0_12_GLOBAL__N_130modified_bessel_i0_kernel_cudaERNS_18TensorIteratorBaseEENKUlvE_clEvENKUlvE0_clEvEUlfE_EEvS5_RKT_EUlibE0_EEviT1_.uses_vcc, 1
	.set _ZN2at6native32elementwise_kernel_manual_unrollILi128ELi4EZNS0_15gpu_kernel_implIZZZNS0_12_GLOBAL__N_130modified_bessel_i0_kernel_cudaERNS_18TensorIteratorBaseEENKUlvE_clEvENKUlvE0_clEvEUlfE_EEvS5_RKT_EUlibE0_EEviT1_.uses_flat_scratch, 0
	.set _ZN2at6native32elementwise_kernel_manual_unrollILi128ELi4EZNS0_15gpu_kernel_implIZZZNS0_12_GLOBAL__N_130modified_bessel_i0_kernel_cudaERNS_18TensorIteratorBaseEENKUlvE_clEvENKUlvE0_clEvEUlfE_EEvS5_RKT_EUlibE0_EEviT1_.has_dyn_sized_stack, 0
	.set _ZN2at6native32elementwise_kernel_manual_unrollILi128ELi4EZNS0_15gpu_kernel_implIZZZNS0_12_GLOBAL__N_130modified_bessel_i0_kernel_cudaERNS_18TensorIteratorBaseEENKUlvE_clEvENKUlvE0_clEvEUlfE_EEvS5_RKT_EUlibE0_EEviT1_.has_recursion, 0
	.set _ZN2at6native32elementwise_kernel_manual_unrollILi128ELi4EZNS0_15gpu_kernel_implIZZZNS0_12_GLOBAL__N_130modified_bessel_i0_kernel_cudaERNS_18TensorIteratorBaseEENKUlvE_clEvENKUlvE0_clEvEUlfE_EEvS5_RKT_EUlibE0_EEviT1_.has_indirect_call, 0
	.section	.AMDGPU.csdata,"",@progbits
; Kernel info:
; codeLenInByte = 49244
; TotalNumSgprs: 82
; NumVgprs: 19
; ScratchSize: 0
; MemoryBound: 1
; FloatMode: 240
; IeeeMode: 1
; LDSByteSize: 0 bytes/workgroup (compile time only)
; SGPRBlocks: 10
; VGPRBlocks: 4
; NumSGPRsForWavesPerEU: 82
; NumVGPRsForWavesPerEU: 19
; Occupancy: 9
; WaveLimiterHint : 1
; COMPUTE_PGM_RSRC2:SCRATCH_EN: 0
; COMPUTE_PGM_RSRC2:USER_SGPR: 6
; COMPUTE_PGM_RSRC2:TRAP_HANDLER: 0
; COMPUTE_PGM_RSRC2:TGID_X_EN: 1
; COMPUTE_PGM_RSRC2:TGID_Y_EN: 0
; COMPUTE_PGM_RSRC2:TGID_Z_EN: 0
; COMPUTE_PGM_RSRC2:TIDIG_COMP_CNT: 0
	.section	.AMDGPU.gpr_maximums,"",@progbits
	.set amdgpu.max_num_vgpr, 32
	.set amdgpu.max_num_agpr, 0
	.set amdgpu.max_num_sgpr, 32
	.section	.AMDGPU.csdata,"",@progbits
	.type	__hip_cuid_91592cff0a7efa71,@object ; @__hip_cuid_91592cff0a7efa71
	.section	.bss,"aw",@nobits
	.globl	__hip_cuid_91592cff0a7efa71
__hip_cuid_91592cff0a7efa71:
	.byte	0                               ; 0x0
	.size	__hip_cuid_91592cff0a7efa71, 1

	.ident	"AMD clang version 22.0.0git (https://github.com/RadeonOpenCompute/llvm-project roc-7.2.4 26084 f58b06dce1f9c15707c5f808fd002e18c2accf7e)"
	.section	".note.GNU-stack","",@progbits
	.addrsig
	.addrsig_sym __hip_cuid_91592cff0a7efa71
	.amdgpu_metadata
---
amdhsa.kernels:
  - .args:
      - .offset:         0
        .size:           4
        .value_kind:     by_value
      - .offset:         4
        .size:           1
        .value_kind:     by_value
      - .offset:         8
        .size:           16
        .value_kind:     by_value
    .group_segment_fixed_size: 0
    .kernarg_segment_align: 8
    .kernarg_segment_size: 24
    .language:       OpenCL C
    .language_version:
      - 2
      - 0
    .max_flat_workgroup_size: 256
    .name:           _ZN2at6native29vectorized_elementwise_kernelILi16EZZZNS0_12_GLOBAL__N_130modified_bessel_i0_kernel_cudaERNS_18TensorIteratorBaseEENKUlvE_clEvENKUlvE_clEvEUldE_St5arrayIPcLm2EEEEviT0_T1_
    .private_segment_fixed_size: 0
    .sgpr_count:     37
    .sgpr_spill_count: 0
    .symbol:         _ZN2at6native29vectorized_elementwise_kernelILi16EZZZNS0_12_GLOBAL__N_130modified_bessel_i0_kernel_cudaERNS_18TensorIteratorBaseEENKUlvE_clEvENKUlvE_clEvEUldE_St5arrayIPcLm2EEEEviT0_T1_.kd
    .uniform_work_group_size: 1
    .uses_dynamic_stack: false
    .vgpr_count:     32
    .vgpr_spill_count: 0
    .wavefront_size: 64
  - .args:
      - .offset:         0
        .size:           4
        .value_kind:     by_value
      - .offset:         4
        .size:           1
        .value_kind:     by_value
      - .offset:         8
        .size:           16
        .value_kind:     by_value
    .group_segment_fixed_size: 0
    .kernarg_segment_align: 8
    .kernarg_segment_size: 24
    .language:       OpenCL C
    .language_version:
      - 2
      - 0
    .max_flat_workgroup_size: 256
    .name:           _ZN2at6native29vectorized_elementwise_kernelILi8EZZZNS0_12_GLOBAL__N_130modified_bessel_i0_kernel_cudaERNS_18TensorIteratorBaseEENKUlvE_clEvENKUlvE_clEvEUldE_St5arrayIPcLm2EEEEviT0_T1_
    .private_segment_fixed_size: 0
    .sgpr_count:     37
    .sgpr_spill_count: 0
    .symbol:         _ZN2at6native29vectorized_elementwise_kernelILi8EZZZNS0_12_GLOBAL__N_130modified_bessel_i0_kernel_cudaERNS_18TensorIteratorBaseEENKUlvE_clEvENKUlvE_clEvEUldE_St5arrayIPcLm2EEEEviT0_T1_.kd
    .uniform_work_group_size: 1
    .uses_dynamic_stack: false
    .vgpr_count:     32
    .vgpr_spill_count: 0
    .wavefront_size: 64
  - .args:
      - .offset:         0
        .size:           4
        .value_kind:     by_value
      - .offset:         4
        .size:           1
        .value_kind:     by_value
      - .offset:         8
        .size:           16
        .value_kind:     by_value
    .group_segment_fixed_size: 0
    .kernarg_segment_align: 8
    .kernarg_segment_size: 24
    .language:       OpenCL C
    .language_version:
      - 2
      - 0
    .max_flat_workgroup_size: 256
    .name:           _ZN2at6native29vectorized_elementwise_kernelILi4EZZZNS0_12_GLOBAL__N_130modified_bessel_i0_kernel_cudaERNS_18TensorIteratorBaseEENKUlvE_clEvENKUlvE_clEvEUldE_St5arrayIPcLm2EEEEviT0_T1_
    .private_segment_fixed_size: 0
    .sgpr_count:     37
    .sgpr_spill_count: 0
    .symbol:         _ZN2at6native29vectorized_elementwise_kernelILi4EZZZNS0_12_GLOBAL__N_130modified_bessel_i0_kernel_cudaERNS_18TensorIteratorBaseEENKUlvE_clEvENKUlvE_clEvEUldE_St5arrayIPcLm2EEEEviT0_T1_.kd
    .uniform_work_group_size: 1
    .uses_dynamic_stack: false
    .vgpr_count:     32
    .vgpr_spill_count: 0
    .wavefront_size: 64
  - .args:
      - .offset:         0
        .size:           4
        .value_kind:     by_value
      - .offset:         4
        .size:           1
        .value_kind:     by_value
      - .offset:         8
        .size:           16
        .value_kind:     by_value
    .group_segment_fixed_size: 0
    .kernarg_segment_align: 8
    .kernarg_segment_size: 24
    .language:       OpenCL C
    .language_version:
      - 2
      - 0
    .max_flat_workgroup_size: 256
    .name:           _ZN2at6native29vectorized_elementwise_kernelILi2EZZZNS0_12_GLOBAL__N_130modified_bessel_i0_kernel_cudaERNS_18TensorIteratorBaseEENKUlvE_clEvENKUlvE_clEvEUldE_St5arrayIPcLm2EEEEviT0_T1_
    .private_segment_fixed_size: 0
    .sgpr_count:     37
    .sgpr_spill_count: 0
    .symbol:         _ZN2at6native29vectorized_elementwise_kernelILi2EZZZNS0_12_GLOBAL__N_130modified_bessel_i0_kernel_cudaERNS_18TensorIteratorBaseEENKUlvE_clEvENKUlvE_clEvEUldE_St5arrayIPcLm2EEEEviT0_T1_.kd
    .uniform_work_group_size: 1
    .uses_dynamic_stack: false
    .vgpr_count:     32
    .vgpr_spill_count: 0
    .wavefront_size: 64
  - .args:
      - .offset:         0
        .size:           4
        .value_kind:     by_value
      - .offset:         4
        .size:           1
        .value_kind:     by_value
      - .offset:         8
        .size:           16
        .value_kind:     by_value
      - .offset:         24
        .size:           1
        .value_kind:     by_value
      - .offset:         25
        .size:           1
        .value_kind:     by_value
      - .offset:         26
        .size:           1
        .value_kind:     by_value
      - .offset:         27
        .size:           1
        .value_kind:     by_value
    .group_segment_fixed_size: 0
    .kernarg_segment_align: 8
    .kernarg_segment_size: 28
    .language:       OpenCL C
    .language_version:
      - 2
      - 0
    .max_flat_workgroup_size: 256
    .name:           _ZN2at6native27unrolled_elementwise_kernelIZZZNS0_12_GLOBAL__N_130modified_bessel_i0_kernel_cudaERNS_18TensorIteratorBaseEENKUlvE_clEvENKUlvE_clEvEUldE_St5arrayIPcLm2EELi4E23TrivialOffsetCalculatorILi1EjESC_NS0_6memory15LoadWithoutCastENSD_16StoreWithoutCastEEEviT_T0_T2_T3_T4_T5_
    .private_segment_fixed_size: 0
    .sgpr_count:     37
    .sgpr_spill_count: 0
    .symbol:         _ZN2at6native27unrolled_elementwise_kernelIZZZNS0_12_GLOBAL__N_130modified_bessel_i0_kernel_cudaERNS_18TensorIteratorBaseEENKUlvE_clEvENKUlvE_clEvEUldE_St5arrayIPcLm2EELi4E23TrivialOffsetCalculatorILi1EjESC_NS0_6memory15LoadWithoutCastENSD_16StoreWithoutCastEEEviT_T0_T2_T3_T4_T5_.kd
    .uniform_work_group_size: 1
    .uses_dynamic_stack: false
    .vgpr_count:     32
    .vgpr_spill_count: 0
    .wavefront_size: 64
  - .args:
      - .offset:         0
        .size:           4
        .value_kind:     by_value
      - .offset:         8
        .size:           352
        .value_kind:     by_value
    .group_segment_fixed_size: 0
    .kernarg_segment_align: 8
    .kernarg_segment_size: 360
    .language:       OpenCL C
    .language_version:
      - 2
      - 0
    .max_flat_workgroup_size: 128
    .name:           _ZN2at6native32elementwise_kernel_manual_unrollILi128ELi4EZNS0_22gpu_kernel_impl_nocastIZZZNS0_12_GLOBAL__N_130modified_bessel_i0_kernel_cudaERNS_18TensorIteratorBaseEENKUlvE_clEvENKUlvE_clEvEUldE_EEvS5_RKT_EUlibE_EEviT1_
    .private_segment_fixed_size: 0
    .sgpr_count:     64
    .sgpr_spill_count: 0
    .symbol:         _ZN2at6native32elementwise_kernel_manual_unrollILi128ELi4EZNS0_22gpu_kernel_impl_nocastIZZZNS0_12_GLOBAL__N_130modified_bessel_i0_kernel_cudaERNS_18TensorIteratorBaseEENKUlvE_clEvENKUlvE_clEvEUldE_EEvS5_RKT_EUlibE_EEviT1_.kd
    .uniform_work_group_size: 1
    .uses_dynamic_stack: false
    .vgpr_count:     33
    .vgpr_spill_count: 0
    .wavefront_size: 64
  - .args:
      - .offset:         0
        .size:           4
        .value_kind:     by_value
      - .offset:         8
        .size:           32
        .value_kind:     by_value
    .group_segment_fixed_size: 0
    .kernarg_segment_align: 8
    .kernarg_segment_size: 40
    .language:       OpenCL C
    .language_version:
      - 2
      - 0
    .max_flat_workgroup_size: 128
    .name:           _ZN2at6native32elementwise_kernel_manual_unrollILi128ELi4EZNS0_15gpu_kernel_implIZZZNS0_12_GLOBAL__N_130modified_bessel_i0_kernel_cudaERNS_18TensorIteratorBaseEENKUlvE_clEvENKUlvE_clEvEUldE_EEvS5_RKT_EUlibE_EEviT1_
    .private_segment_fixed_size: 0
    .sgpr_count:     48
    .sgpr_spill_count: 0
    .symbol:         _ZN2at6native32elementwise_kernel_manual_unrollILi128ELi4EZNS0_15gpu_kernel_implIZZZNS0_12_GLOBAL__N_130modified_bessel_i0_kernel_cudaERNS_18TensorIteratorBaseEENKUlvE_clEvENKUlvE_clEvEUldE_EEvS5_RKT_EUlibE_EEviT1_.kd
    .uniform_work_group_size: 1
    .uses_dynamic_stack: false
    .vgpr_count:     29
    .vgpr_spill_count: 0
    .wavefront_size: 64
  - .args:
      - .offset:         0
        .size:           4
        .value_kind:     by_value
      - .offset:         8
        .size:           352
        .value_kind:     by_value
    .group_segment_fixed_size: 0
    .kernarg_segment_align: 8
    .kernarg_segment_size: 360
    .language:       OpenCL C
    .language_version:
      - 2
      - 0
    .max_flat_workgroup_size: 128
    .name:           _ZN2at6native32elementwise_kernel_manual_unrollILi128ELi4EZNS0_15gpu_kernel_implIZZZNS0_12_GLOBAL__N_130modified_bessel_i0_kernel_cudaERNS_18TensorIteratorBaseEENKUlvE_clEvENKUlvE_clEvEUldE_EEvS5_RKT_EUlibE0_EEviT1_
    .private_segment_fixed_size: 0
    .sgpr_count:     82
    .sgpr_spill_count: 0
    .symbol:         _ZN2at6native32elementwise_kernel_manual_unrollILi128ELi4EZNS0_15gpu_kernel_implIZZZNS0_12_GLOBAL__N_130modified_bessel_i0_kernel_cudaERNS_18TensorIteratorBaseEENKUlvE_clEvENKUlvE_clEvEUldE_EEvS5_RKT_EUlibE0_EEviT1_.kd
    .uniform_work_group_size: 1
    .uses_dynamic_stack: false
    .vgpr_count:     35
    .vgpr_spill_count: 0
    .wavefront_size: 64
  - .args:
      - .offset:         0
        .size:           4
        .value_kind:     by_value
      - .offset:         4
        .size:           1
        .value_kind:     by_value
      - .offset:         8
        .size:           16
        .value_kind:     by_value
    .group_segment_fixed_size: 0
    .kernarg_segment_align: 8
    .kernarg_segment_size: 24
    .language:       OpenCL C
    .language_version:
      - 2
      - 0
    .max_flat_workgroup_size: 256
    .name:           _ZN2at6native29vectorized_elementwise_kernelILi16EZZZNS0_12_GLOBAL__N_130modified_bessel_i0_kernel_cudaERNS_18TensorIteratorBaseEENKUlvE_clEvENKUlvE0_clEvEUlfE_St5arrayIPcLm2EEEEviT0_T1_
    .private_segment_fixed_size: 0
    .sgpr_count:     37
    .sgpr_spill_count: 0
    .symbol:         _ZN2at6native29vectorized_elementwise_kernelILi16EZZZNS0_12_GLOBAL__N_130modified_bessel_i0_kernel_cudaERNS_18TensorIteratorBaseEENKUlvE_clEvENKUlvE0_clEvEUlfE_St5arrayIPcLm2EEEEviT0_T1_.kd
    .uniform_work_group_size: 1
    .uses_dynamic_stack: false
    .vgpr_count:     32
    .vgpr_spill_count: 0
    .wavefront_size: 64
  - .args:
      - .offset:         0
        .size:           4
        .value_kind:     by_value
      - .offset:         4
        .size:           1
        .value_kind:     by_value
      - .offset:         8
        .size:           16
        .value_kind:     by_value
    .group_segment_fixed_size: 0
    .kernarg_segment_align: 8
    .kernarg_segment_size: 24
    .language:       OpenCL C
    .language_version:
      - 2
      - 0
    .max_flat_workgroup_size: 256
    .name:           _ZN2at6native29vectorized_elementwise_kernelILi8EZZZNS0_12_GLOBAL__N_130modified_bessel_i0_kernel_cudaERNS_18TensorIteratorBaseEENKUlvE_clEvENKUlvE0_clEvEUlfE_St5arrayIPcLm2EEEEviT0_T1_
    .private_segment_fixed_size: 0
    .sgpr_count:     37
    .sgpr_spill_count: 0
    .symbol:         _ZN2at6native29vectorized_elementwise_kernelILi8EZZZNS0_12_GLOBAL__N_130modified_bessel_i0_kernel_cudaERNS_18TensorIteratorBaseEENKUlvE_clEvENKUlvE0_clEvEUlfE_St5arrayIPcLm2EEEEviT0_T1_.kd
    .uniform_work_group_size: 1
    .uses_dynamic_stack: false
    .vgpr_count:     32
    .vgpr_spill_count: 0
    .wavefront_size: 64
  - .args:
      - .offset:         0
        .size:           4
        .value_kind:     by_value
      - .offset:         4
        .size:           1
        .value_kind:     by_value
      - .offset:         8
        .size:           16
        .value_kind:     by_value
    .group_segment_fixed_size: 0
    .kernarg_segment_align: 8
    .kernarg_segment_size: 24
    .language:       OpenCL C
    .language_version:
      - 2
      - 0
    .max_flat_workgroup_size: 256
    .name:           _ZN2at6native29vectorized_elementwise_kernelILi4EZZZNS0_12_GLOBAL__N_130modified_bessel_i0_kernel_cudaERNS_18TensorIteratorBaseEENKUlvE_clEvENKUlvE0_clEvEUlfE_St5arrayIPcLm2EEEEviT0_T1_
    .private_segment_fixed_size: 0
    .sgpr_count:     37
    .sgpr_spill_count: 0
    .symbol:         _ZN2at6native29vectorized_elementwise_kernelILi4EZZZNS0_12_GLOBAL__N_130modified_bessel_i0_kernel_cudaERNS_18TensorIteratorBaseEENKUlvE_clEvENKUlvE0_clEvEUlfE_St5arrayIPcLm2EEEEviT0_T1_.kd
    .uniform_work_group_size: 1
    .uses_dynamic_stack: false
    .vgpr_count:     32
    .vgpr_spill_count: 0
    .wavefront_size: 64
  - .args:
      - .offset:         0
        .size:           4
        .value_kind:     by_value
      - .offset:         4
        .size:           1
        .value_kind:     by_value
      - .offset:         8
        .size:           16
        .value_kind:     by_value
    .group_segment_fixed_size: 0
    .kernarg_segment_align: 8
    .kernarg_segment_size: 24
    .language:       OpenCL C
    .language_version:
      - 2
      - 0
    .max_flat_workgroup_size: 256
    .name:           _ZN2at6native29vectorized_elementwise_kernelILi2EZZZNS0_12_GLOBAL__N_130modified_bessel_i0_kernel_cudaERNS_18TensorIteratorBaseEENKUlvE_clEvENKUlvE0_clEvEUlfE_St5arrayIPcLm2EEEEviT0_T1_
    .private_segment_fixed_size: 0
    .sgpr_count:     37
    .sgpr_spill_count: 0
    .symbol:         _ZN2at6native29vectorized_elementwise_kernelILi2EZZZNS0_12_GLOBAL__N_130modified_bessel_i0_kernel_cudaERNS_18TensorIteratorBaseEENKUlvE_clEvENKUlvE0_clEvEUlfE_St5arrayIPcLm2EEEEviT0_T1_.kd
    .uniform_work_group_size: 1
    .uses_dynamic_stack: false
    .vgpr_count:     32
    .vgpr_spill_count: 0
    .wavefront_size: 64
  - .args:
      - .offset:         0
        .size:           4
        .value_kind:     by_value
      - .offset:         4
        .size:           1
        .value_kind:     by_value
      - .offset:         8
        .size:           16
        .value_kind:     by_value
      - .offset:         24
        .size:           1
        .value_kind:     by_value
      - .offset:         25
        .size:           1
        .value_kind:     by_value
      - .offset:         26
        .size:           1
        .value_kind:     by_value
      - .offset:         27
        .size:           1
        .value_kind:     by_value
    .group_segment_fixed_size: 0
    .kernarg_segment_align: 8
    .kernarg_segment_size: 28
    .language:       OpenCL C
    .language_version:
      - 2
      - 0
    .max_flat_workgroup_size: 256
    .name:           _ZN2at6native27unrolled_elementwise_kernelIZZZNS0_12_GLOBAL__N_130modified_bessel_i0_kernel_cudaERNS_18TensorIteratorBaseEENKUlvE_clEvENKUlvE0_clEvEUlfE_St5arrayIPcLm2EELi4E23TrivialOffsetCalculatorILi1EjESC_NS0_6memory15LoadWithoutCastENSD_16StoreWithoutCastEEEviT_T0_T2_T3_T4_T5_
    .private_segment_fixed_size: 0
    .sgpr_count:     37
    .sgpr_spill_count: 0
    .symbol:         _ZN2at6native27unrolled_elementwise_kernelIZZZNS0_12_GLOBAL__N_130modified_bessel_i0_kernel_cudaERNS_18TensorIteratorBaseEENKUlvE_clEvENKUlvE0_clEvEUlfE_St5arrayIPcLm2EELi4E23TrivialOffsetCalculatorILi1EjESC_NS0_6memory15LoadWithoutCastENSD_16StoreWithoutCastEEEviT_T0_T2_T3_T4_T5_.kd
    .uniform_work_group_size: 1
    .uses_dynamic_stack: false
    .vgpr_count:     32
    .vgpr_spill_count: 0
    .wavefront_size: 64
  - .args:
      - .offset:         0
        .size:           4
        .value_kind:     by_value
      - .offset:         8
        .size:           352
        .value_kind:     by_value
    .group_segment_fixed_size: 0
    .kernarg_segment_align: 8
    .kernarg_segment_size: 360
    .language:       OpenCL C
    .language_version:
      - 2
      - 0
    .max_flat_workgroup_size: 128
    .name:           _ZN2at6native32elementwise_kernel_manual_unrollILi128ELi4EZNS0_22gpu_kernel_impl_nocastIZZZNS0_12_GLOBAL__N_130modified_bessel_i0_kernel_cudaERNS_18TensorIteratorBaseEENKUlvE_clEvENKUlvE0_clEvEUlfE_EEvS5_RKT_EUlibE_EEviT1_
    .private_segment_fixed_size: 0
    .sgpr_count:     64
    .sgpr_spill_count: 0
    .symbol:         _ZN2at6native32elementwise_kernel_manual_unrollILi128ELi4EZNS0_22gpu_kernel_impl_nocastIZZZNS0_12_GLOBAL__N_130modified_bessel_i0_kernel_cudaERNS_18TensorIteratorBaseEENKUlvE_clEvENKUlvE0_clEvEUlfE_EEvS5_RKT_EUlibE_EEviT1_.kd
    .uniform_work_group_size: 1
    .uses_dynamic_stack: false
    .vgpr_count:     19
    .vgpr_spill_count: 0
    .wavefront_size: 64
  - .args:
      - .offset:         0
        .size:           4
        .value_kind:     by_value
      - .offset:         8
        .size:           32
        .value_kind:     by_value
    .group_segment_fixed_size: 0
    .kernarg_segment_align: 8
    .kernarg_segment_size: 40
    .language:       OpenCL C
    .language_version:
      - 2
      - 0
    .max_flat_workgroup_size: 128
    .name:           _ZN2at6native32elementwise_kernel_manual_unrollILi128ELi4EZNS0_15gpu_kernel_implIZZZNS0_12_GLOBAL__N_130modified_bessel_i0_kernel_cudaERNS_18TensorIteratorBaseEENKUlvE_clEvENKUlvE0_clEvEUlfE_EEvS5_RKT_EUlibE_EEviT1_
    .private_segment_fixed_size: 0
    .sgpr_count:     48
    .sgpr_spill_count: 0
    .symbol:         _ZN2at6native32elementwise_kernel_manual_unrollILi128ELi4EZNS0_15gpu_kernel_implIZZZNS0_12_GLOBAL__N_130modified_bessel_i0_kernel_cudaERNS_18TensorIteratorBaseEENKUlvE_clEvENKUlvE0_clEvEUlfE_EEvS5_RKT_EUlibE_EEviT1_.kd
    .uniform_work_group_size: 1
    .uses_dynamic_stack: false
    .vgpr_count:     16
    .vgpr_spill_count: 0
    .wavefront_size: 64
  - .args:
      - .offset:         0
        .size:           4
        .value_kind:     by_value
      - .offset:         8
        .size:           352
        .value_kind:     by_value
    .group_segment_fixed_size: 0
    .kernarg_segment_align: 8
    .kernarg_segment_size: 360
    .language:       OpenCL C
    .language_version:
      - 2
      - 0
    .max_flat_workgroup_size: 128
    .name:           _ZN2at6native32elementwise_kernel_manual_unrollILi128ELi4EZNS0_15gpu_kernel_implIZZZNS0_12_GLOBAL__N_130modified_bessel_i0_kernel_cudaERNS_18TensorIteratorBaseEENKUlvE_clEvENKUlvE0_clEvEUlfE_EEvS5_RKT_EUlibE0_EEviT1_
    .private_segment_fixed_size: 0
    .sgpr_count:     82
    .sgpr_spill_count: 0
    .symbol:         _ZN2at6native32elementwise_kernel_manual_unrollILi128ELi4EZNS0_15gpu_kernel_implIZZZNS0_12_GLOBAL__N_130modified_bessel_i0_kernel_cudaERNS_18TensorIteratorBaseEENKUlvE_clEvENKUlvE0_clEvEUlfE_EEvS5_RKT_EUlibE0_EEviT1_.kd
    .uniform_work_group_size: 1
    .uses_dynamic_stack: false
    .vgpr_count:     19
    .vgpr_spill_count: 0
    .wavefront_size: 64
amdhsa.target:   amdgcn-amd-amdhsa--gfx906
amdhsa.version:
  - 1
  - 2
...

	.end_amdgpu_metadata
